;; amdgpu-corpus repo=ROCm/rocFFT kind=compiled arch=gfx906 opt=O3
	.text
	.amdgcn_target "amdgcn-amd-amdhsa--gfx906"
	.amdhsa_code_object_version 6
	.protected	bluestein_single_fwd_len286_dim1_dp_op_CI_CI ; -- Begin function bluestein_single_fwd_len286_dim1_dp_op_CI_CI
	.globl	bluestein_single_fwd_len286_dim1_dp_op_CI_CI
	.p2align	8
	.type	bluestein_single_fwd_len286_dim1_dp_op_CI_CI,@function
bluestein_single_fwd_len286_dim1_dp_op_CI_CI: ; @bluestein_single_fwd_len286_dim1_dp_op_CI_CI
; %bb.0:
	s_mov_b64 s[54:55], s[2:3]
	s_mov_b64 s[52:53], s[0:1]
	s_load_dwordx4 s[0:3], s[4:5], 0x28
	v_mul_u32_u24_e32 v1, 0x9d9, v0
	v_lshrrev_b32_e32 v1, 16, v1
	v_lshl_add_u32 v225, s6, 1, v1
	v_mov_b32_e32 v226, 0
	s_add_u32 s52, s52, s7
	s_waitcnt lgkmcnt(0)
	v_cmp_gt_u64_e32 vcc, s[0:1], v[225:226]
	s_addc_u32 s53, s53, 0
	s_and_saveexec_b64 s[0:1], vcc
	s_cbranch_execz .LBB0_23
; %bb.1:
	s_load_dwordx2 s[14:15], s[4:5], 0x0
	s_load_dwordx2 s[12:13], s[4:5], 0x38
	v_mul_lo_u16_e32 v2, 26, v1
	v_sub_u16_e32 v229, v0, v2
	v_and_b32_e32 v0, 1, v1
	v_mov_b32_e32 v1, 0x11e
	v_cmp_eq_u32_e32 vcc, 1, v0
	v_cndmask_b32_e32 v226, 0, v1, vcc
	v_cmp_gt_u16_e64 s[0:1], 22, v229
	v_lshlrev_b32_e32 v132, 4, v229
	v_lshlrev_b32_e32 v227, 4, v226
	s_and_saveexec_b64 s[6:7], s[0:1]
	s_cbranch_execz .LBB0_3
; %bb.2:
	s_load_dwordx2 s[8:9], s[4:5], 0x18
	s_waitcnt lgkmcnt(0)
	s_load_dwordx4 s[8:11], s[8:9], 0x0
	s_waitcnt lgkmcnt(0)
	v_mad_u64_u32 v[0:1], s[16:17], s10, v225, 0
	v_mad_u64_u32 v[2:3], s[16:17], s8, v229, 0
	;; [unrolled: 1-line block ×4, first 2 shown]
	v_mov_b32_e32 v1, v4
	v_lshlrev_b64 v[0:1], 4, v[0:1]
	v_mov_b32_e32 v3, v5
	v_mov_b32_e32 v6, s3
	v_lshlrev_b64 v[2:3], 4, v[2:3]
	v_add_co_u32_e32 v0, vcc, s2, v0
	v_addc_co_u32_e32 v1, vcc, v6, v1, vcc
	v_add_co_u32_e32 v12, vcc, v0, v2
	v_addc_co_u32_e32 v13, vcc, v1, v3, vcc
	v_mov_b32_e32 v0, s15
	v_add_co_u32_e32 v100, vcc, s14, v132
	s_mul_i32 s2, s9, 0x160
	s_mul_hi_u32 s3, s8, 0x160
	v_addc_co_u32_e32 v101, vcc, 0, v0, vcc
	s_add_i32 s2, s3, s2
	s_mul_i32 s3, s8, 0x160
	global_load_dwordx4 v[0:3], v132, s[14:15]
	v_mov_b32_e32 v4, s2
	v_add_co_u32_e32 v14, vcc, s3, v12
	v_addc_co_u32_e32 v15, vcc, v13, v4, vcc
	global_load_dwordx4 v[4:7], v[12:13], off
	global_load_dwordx4 v[8:11], v[14:15], off
	v_mov_b32_e32 v12, s2
	v_add_co_u32_e32 v28, vcc, s3, v14
	v_addc_co_u32_e32 v29, vcc, v15, v12, vcc
	v_mov_b32_e32 v20, s2
	v_add_co_u32_e32 v30, vcc, s3, v28
	v_addc_co_u32_e32 v31, vcc, v29, v20, vcc
	global_load_dwordx4 v[12:15], v132, s[14:15] offset:352
	global_load_dwordx4 v[16:19], v132, s[14:15] offset:704
	global_load_dwordx4 v[20:23], v[28:29], off
	global_load_dwordx4 v[24:27], v[30:31], off
	v_mov_b32_e32 v28, s2
	v_add_co_u32_e32 v40, vcc, s3, v30
	v_addc_co_u32_e32 v41, vcc, v31, v28, vcc
	global_load_dwordx4 v[28:31], v[40:41], off
	global_load_dwordx4 v[32:35], v132, s[14:15] offset:1056
	global_load_dwordx4 v[36:39], v132, s[14:15] offset:1408
	v_mov_b32_e32 v42, s2
	v_add_co_u32_e32 v44, vcc, s3, v40
	v_addc_co_u32_e32 v45, vcc, v41, v42, vcc
	v_mov_b32_e32 v46, s2
	v_add_co_u32_e32 v56, vcc, s3, v44
	v_addc_co_u32_e32 v57, vcc, v45, v46, vcc
	;; [unrolled: 3-line block ×5, first 2 shown]
	v_mov_b32_e32 v78, s2
	v_add_co_u32_e32 v88, vcc, s3, v76
	global_load_dwordx4 v[40:43], v[44:45], off
	v_addc_co_u32_e32 v89, vcc, v77, v78, vcc
	global_load_dwordx4 v[44:47], v[56:57], off
	global_load_dwordx4 v[48:51], v132, s[14:15] offset:1760
	global_load_dwordx4 v[52:55], v132, s[14:15] offset:2112
	v_mov_b32_e32 v90, s2
	v_add_co_u32_e32 v96, vcc, s3, v88
	global_load_dwordx4 v[56:59], v[60:61], off
	v_addc_co_u32_e32 v97, vcc, v89, v90, vcc
	global_load_dwordx4 v[60:63], v[72:73], off
	global_load_dwordx4 v[64:67], v132, s[14:15] offset:2464
	global_load_dwordx4 v[68:71], v132, s[14:15] offset:2816
	v_mov_b32_e32 v98, s2
	global_load_dwordx4 v[72:75], v[76:77], off
	s_nop 0
	global_load_dwordx4 v[76:79], v[88:89], off
	global_load_dwordx4 v[80:83], v132, s[14:15] offset:3168
	global_load_dwordx4 v[84:87], v132, s[14:15] offset:3520
	s_nop 0
	global_load_dwordx4 v[88:91], v[96:97], off
	global_load_dwordx4 v[92:95], v132, s[14:15] offset:3872
	v_add_co_u32_e32 v96, vcc, s3, v96
	v_addc_co_u32_e32 v97, vcc, v97, v98, vcc
	s_movk_i32 s2, 0x1000
	v_add_co_u32_e32 v100, vcc, s2, v100
	v_addc_co_u32_e32 v101, vcc, 0, v101, vcc
	global_load_dwordx4 v[96:99], v[96:97], off
	s_waitcnt vmcnt(23)
	v_mul_f64 v[104:105], v[6:7], v[2:3]
	global_load_dwordx4 v[100:103], v[100:101], off offset:128
	v_mul_f64 v[106:107], v[4:5], v[2:3]
	v_fma_f64 v[2:3], v[4:5], v[0:1], v[104:105]
	v_fma_f64 v[4:5], v[6:7], v[0:1], -v[106:107]
	s_waitcnt vmcnt(22)
	v_mul_f64 v[0:1], v[10:11], v[14:15]
	v_mul_f64 v[14:15], v[8:9], v[14:15]
	s_waitcnt vmcnt(20)
	v_mul_f64 v[104:105], v[22:23], v[18:19]
	v_mul_f64 v[18:19], v[20:21], v[18:19]
	s_waitcnt vmcnt(17)
	v_mul_f64 v[106:107], v[26:27], v[34:35]
	v_mul_f64 v[34:35], v[24:25], v[34:35]
	s_waitcnt vmcnt(16)
	v_mul_f64 v[108:109], v[30:31], v[38:39]
	v_mul_f64 v[38:39], v[28:29], v[38:39]
	v_fma_f64 v[6:7], v[8:9], v[12:13], v[0:1]
	v_fma_f64 v[8:9], v[10:11], v[12:13], -v[14:15]
	v_fma_f64 v[10:11], v[20:21], v[16:17], v[104:105]
	v_fma_f64 v[12:13], v[22:23], v[16:17], -v[18:19]
	;; [unrolled: 2-line block ×4, first 2 shown]
	v_lshl_add_u32 v0, v229, 4, v227
	ds_write_b128 v0, v[2:5]
	v_add_u32_e32 v32, v227, v132
	ds_write_b128 v32, v[6:9] offset:352
	ds_write_b128 v32, v[10:13] offset:704
	;; [unrolled: 1-line block ×4, first 2 shown]
	s_waitcnt vmcnt(13)
	v_mul_f64 v[0:1], v[42:43], v[50:51]
	v_mul_f64 v[2:3], v[40:41], v[50:51]
	s_waitcnt vmcnt(12)
	v_mul_f64 v[4:5], v[46:47], v[54:55]
	v_mul_f64 v[6:7], v[44:45], v[54:55]
	;; [unrolled: 3-line block ×7, first 2 shown]
	v_fma_f64 v[0:1], v[40:41], v[48:49], v[0:1]
	v_fma_f64 v[2:3], v[42:43], v[48:49], -v[2:3]
	v_fma_f64 v[4:5], v[44:45], v[52:53], v[4:5]
	v_fma_f64 v[6:7], v[46:47], v[52:53], -v[6:7]
	;; [unrolled: 2-line block ×7, first 2 shown]
	s_waitcnt vmcnt(0)
	v_mul_f64 v[28:29], v[98:99], v[102:103]
	v_mul_f64 v[30:31], v[96:97], v[102:103]
	v_fma_f64 v[28:29], v[96:97], v[100:101], v[28:29]
	v_fma_f64 v[30:31], v[98:99], v[100:101], -v[30:31]
	ds_write_b128 v32, v[0:3] offset:1760
	ds_write_b128 v32, v[4:7] offset:2112
	;; [unrolled: 1-line block ×8, first 2 shown]
.LBB0_3:
	s_or_b64 exec, exec, s[6:7]
	s_load_dwordx2 s[2:3], s[4:5], 0x20
	s_load_dwordx2 s[8:9], s[4:5], 0x8
	s_waitcnt lgkmcnt(0)
	; wave barrier
	s_waitcnt lgkmcnt(0)
                                        ; implicit-def: $vgpr4_vgpr5
                                        ; implicit-def: $vgpr8_vgpr9
                                        ; implicit-def: $vgpr12_vgpr13
                                        ; implicit-def: $vgpr16_vgpr17
                                        ; implicit-def: $vgpr20_vgpr21
                                        ; implicit-def: $vgpr24_vgpr25
                                        ; implicit-def: $vgpr28_vgpr29
                                        ; implicit-def: $vgpr32_vgpr33
                                        ; implicit-def: $vgpr36_vgpr37
                                        ; implicit-def: $vgpr40_vgpr41
                                        ; implicit-def: $vgpr44_vgpr45
                                        ; implicit-def: $vgpr48_vgpr49
                                        ; implicit-def: $vgpr52_vgpr53
	s_and_saveexec_b64 s[4:5], s[0:1]
	s_cbranch_execz .LBB0_5
; %bb.4:
	v_lshl_add_u32 v0, v226, 4, v132
	ds_read_b128 v[4:7], v0
	ds_read_b128 v[8:11], v0 offset:352
	ds_read_b128 v[12:15], v0 offset:704
	;; [unrolled: 1-line block ×12, first 2 shown]
.LBB0_5:
	s_or_b64 exec, exec, s[4:5]
	s_waitcnt lgkmcnt(0)
	v_add_f64 v[104:105], v[10:11], -v[54:55]
	s_mov_b32 s20, 0x4267c47c
	s_mov_b32 s21, 0xbfddbe06
	v_add_f64 v[64:65], v[8:9], v[52:53]
	v_add_f64 v[120:121], v[14:15], -v[50:51]
	s_mov_b32 s4, 0xe00740e9
	s_mov_b32 s10, 0x42a4c3d2
	;; [unrolled: 1-line block ×3, first 2 shown]
	v_mul_f64 v[66:67], v[104:105], s[20:21]
	s_mov_b32 s11, 0xbfea55e2
	v_add_f64 v[78:79], v[12:13], v[48:49]
	v_add_f64 v[130:131], v[18:19], -v[46:47]
	v_mul_f64 v[72:73], v[120:121], s[10:11]
	s_mov_b32 s6, 0x1ea71119
	s_mov_b32 s26, 0x66966769
	;; [unrolled: 1-line block ×3, first 2 shown]
	v_fma_f64 v[0:1], v[64:65], s[4:5], v[66:67]
	s_mov_b32 s27, 0xbfefc445
	v_add_f64 v[84:85], v[16:17], v[44:45]
	v_mul_f64 v[80:81], v[130:131], s[26:27]
	v_fma_f64 v[56:57], v[78:79], s[6:7], v[72:73]
	v_add_f64 v[149:150], v[22:23], -v[42:43]
	s_mov_b32 s36, 0x2ef20147
	s_mov_b32 s18, 0xebaa3ed8
	v_add_f64 v[0:1], v[4:5], v[0:1]
	s_mov_b32 s37, 0xbfedeba7
	s_mov_b32 s19, 0x3fbedb7d
	v_add_f64 v[94:95], v[8:9], -v[52:53]
	v_add_f64 v[92:93], v[20:21], v[40:41]
	v_mul_f64 v[86:87], v[149:150], s[36:37]
	s_mov_b32 s16, 0xb2365da1
	s_mov_b32 s17, 0xbfd6b1d8
	v_add_f64 v[0:1], v[56:57], v[0:1]
	v_fma_f64 v[56:57], v[84:85], s[18:19], v[80:81]
	v_add_f64 v[118:119], v[10:11], v[54:55]
	v_add_f64 v[100:101], v[12:13], -v[48:49]
	v_mul_f64 v[76:77], v[94:95], s[20:21]
	v_mul_f64 v[106:107], v[104:105], s[10:11]
	v_mul_f64 v[181:182], v[94:95], s[10:11]
	v_add_f64 v[143:144], v[14:15], v[50:51]
	v_add_f64 v[90:91], v[16:17], -v[44:45]
	v_add_f64 v[0:1], v[56:57], v[0:1]
	v_fma_f64 v[56:57], v[92:93], s[16:17], v[86:87]
	v_mul_f64 v[74:75], v[100:101], s[10:11]
	v_fma_f64 v[2:3], v[118:119], s[4:5], -v[76:77]
	v_mul_f64 v[110:111], v[120:121], s[36:37]
	v_fma_f64 v[60:61], v[118:119], s[6:7], -v[181:182]
	v_mul_f64 v[133:134], v[100:101], s[36:37]
	s_mov_b32 s40, 0x4bc48dbf
	s_mov_b32 s41, 0xbfcea1e5
	v_add_f64 v[0:1], v[56:57], v[0:1]
	v_fma_f64 v[56:57], v[64:65], s[6:7], v[106:107]
	v_fma_f64 v[58:59], v[143:144], s[6:7], -v[74:75]
	v_add_f64 v[2:3], v[6:7], v[2:3]
	v_add_f64 v[137:138], v[18:19], v[46:47]
	v_mul_f64 v[82:83], v[90:91], s[26:27]
	v_add_f64 v[96:97], v[20:21], -v[40:41]
	v_fma_f64 v[68:69], v[78:79], s[16:17], v[110:111]
	v_add_f64 v[60:61], v[6:7], v[60:61]
	v_add_f64 v[56:57], v[4:5], v[56:57]
	v_fma_f64 v[70:71], v[143:144], s[16:17], -v[133:134]
	v_mul_f64 v[112:113], v[130:131], s[40:41]
	v_mul_f64 v[135:136], v[90:91], s[40:41]
	s_mov_b32 s34, 0x24c2f84
	s_mov_b32 s30, 0x93053d00
	;; [unrolled: 1-line block ×4, first 2 shown]
	v_add_f64 v[2:3], v[58:59], v[2:3]
	v_fma_f64 v[58:59], v[137:138], s[18:19], -v[82:83]
	v_add_f64 v[161:162], v[22:23], v[42:43]
	v_mul_f64 v[88:89], v[96:97], s[36:37]
	v_add_f64 v[177:178], v[26:27], -v[38:39]
	v_add_f64 v[128:129], v[24:25], -v[36:37]
	v_add_f64 v[56:57], v[68:69], v[56:57]
	v_add_f64 v[60:61], v[70:71], v[60:61]
	v_fma_f64 v[68:69], v[84:85], s[30:31], v[112:113]
	v_fma_f64 v[70:71], v[137:138], s[30:31], -v[135:136]
	v_mul_f64 v[114:115], v[149:150], s[34:35]
	v_mul_f64 v[139:140], v[96:97], s[34:35]
	s_mov_b32 s28, 0xd0032e0c
	s_mov_b32 s25, 0xbfe5384d
	;; [unrolled: 1-line block ×6, first 2 shown]
	v_add_f64 v[98:99], v[24:25], v[36:37]
	v_mul_f64 v[102:103], v[177:178], s[24:25]
	v_add_f64 v[2:3], v[58:59], v[2:3]
	v_fma_f64 v[58:59], v[161:162], s[16:17], -v[88:89]
	v_add_f64 v[197:198], v[26:27], v[38:39]
	v_mul_f64 v[108:109], v[128:129], s[24:25]
	v_add_f64 v[195:196], v[30:31], -v[34:35]
	v_add_f64 v[141:142], v[28:29], -v[32:33]
	v_add_f64 v[56:57], v[68:69], v[56:57]
	v_add_f64 v[60:61], v[70:71], v[60:61]
	v_fma_f64 v[68:69], v[92:93], s[28:29], v[114:115]
	v_fma_f64 v[70:71], v[161:162], s[28:29], -v[139:140]
	v_mul_f64 v[124:125], v[177:178], s[44:45]
	v_mul_f64 v[147:148], v[128:129], s[44:45]
	s_mov_b32 s39, 0x3fddbe06
	s_mov_b32 s38, s20
	v_fma_f64 v[62:63], v[98:99], s[28:29], v[102:103]
	v_add_f64 v[2:3], v[58:59], v[2:3]
	v_fma_f64 v[58:59], v[197:198], s[28:29], -v[108:109]
	v_add_f64 v[145:146], v[28:29], v[32:33]
	v_mul_f64 v[116:117], v[195:196], s[40:41]
	v_add_f64 v[201:202], v[30:31], v[34:35]
	v_mul_f64 v[122:123], v[141:142], s[40:41]
	v_add_f64 v[56:57], v[68:69], v[56:57]
	v_add_f64 v[60:61], v[70:71], v[60:61]
	v_fma_f64 v[68:69], v[98:99], s[18:19], v[124:125]
	v_fma_f64 v[70:71], v[197:198], s[18:19], -v[147:148]
	v_mul_f64 v[126:127], v[195:196], s[38:39]
	v_mul_f64 v[151:152], v[141:142], s[38:39]
	v_add_f64 v[0:1], v[62:63], v[0:1]
	v_add_f64 v[2:3], v[58:59], v[2:3]
	v_fma_f64 v[58:59], v[145:146], s[30:31], v[116:117]
	v_fma_f64 v[62:63], v[201:202], s[30:31], -v[122:123]
	v_add_f64 v[56:57], v[68:69], v[56:57]
	v_add_f64 v[60:61], v[70:71], v[60:61]
	v_fma_f64 v[68:69], v[145:146], s[4:5], v[126:127]
	v_fma_f64 v[70:71], v[201:202], s[4:5], -v[151:152]
	v_mul_lo_u16_e32 v228, 13, v229
	v_add_f64 v[0:1], v[58:59], v[0:1]
	v_add_f64 v[2:3], v[62:63], v[2:3]
	; wave barrier
	v_add_f64 v[68:69], v[68:69], v[56:57]
	v_add_f64 v[70:71], v[70:71], v[60:61]
	s_and_saveexec_b64 s[22:23], s[0:1]
	s_cbranch_execz .LBB0_7
; %bb.6:
	v_mul_f64 v[56:57], v[118:119], s[30:31]
	v_mul_f64 v[60:61], v[104:105], s[40:41]
	s_mov_b32 s47, 0x3fcea1e5
	s_mov_b32 s46, s40
	v_mul_f64 v[58:59], v[143:144], s[4:5]
	v_mul_f64 v[207:208], v[120:121], s[38:39]
	v_mul_f64 v[203:204], v[137:138], s[28:29]
	v_mul_f64 v[217:218], v[130:131], s[24:25]
	v_fma_f64 v[62:63], v[94:95], s[46:47], v[56:57]
	v_fma_f64 v[209:210], v[64:65], s[30:31], v[60:61]
	;; [unrolled: 1-line block ×3, first 2 shown]
	s_mov_b32 s49, 0x3fea55e2
	v_fma_f64 v[211:212], v[100:101], s[20:21], v[58:59]
	v_fma_f64 v[219:220], v[78:79], s[4:5], v[207:208]
	s_mov_b32 s48, s10
	v_mul_f64 v[215:216], v[161:162], s[6:7]
	v_add_f64 v[62:63], v[6:7], v[62:63]
	v_add_f64 v[209:210], v[4:5], v[209:210]
	v_fma_f64 v[221:222], v[90:91], s[34:35], v[203:204]
	v_fma_f64 v[223:224], v[84:85], s[28:29], v[217:218]
	v_fma_f64 v[58:59], v[100:101], s[38:39], v[58:59]
	v_add_f64 v[56:57], v[6:7], v[56:57]
	v_mul_f64 v[213:214], v[197:198], s[16:17]
	v_fma_f64 v[203:204], v[90:91], s[24:25], v[203:204]
	v_add_f64 v[62:63], v[211:212], v[62:63]
	v_mul_f64 v[211:212], v[149:150], s[48:49]
	v_add_f64 v[209:210], v[219:220], v[209:210]
	v_fma_f64 v[219:220], v[96:97], s[10:11], v[215:216]
	v_fma_f64 v[60:61], v[64:65], s[30:31], -v[60:61]
	v_add_f64 v[56:57], v[58:59], v[56:57]
	s_mov_b32 s43, 0x3fedeba7
	s_mov_b32 s42, s36
	v_add_f64 v[62:63], v[221:222], v[62:63]
	v_mul_f64 v[221:222], v[177:178], s[36:37]
	v_fma_f64 v[230:231], v[92:93], s[6:7], v[211:212]
	v_add_f64 v[209:210], v[223:224], v[209:210]
	v_fma_f64 v[223:224], v[128:129], s[42:43], v[213:214]
	v_fma_f64 v[215:216], v[96:97], s[48:49], v[215:216]
	v_add_f64 v[56:57], v[203:204], v[56:57]
	v_fma_f64 v[207:208], v[78:79], s[4:5], -v[207:208]
	v_add_f64 v[58:59], v[219:220], v[62:63]
	v_mul_f64 v[62:63], v[195:196], s[44:45]
	v_fma_f64 v[219:220], v[98:99], s[16:17], v[221:222]
	v_add_f64 v[209:210], v[230:231], v[209:210]
	v_add_f64 v[60:61], v[4:5], v[60:61]
	v_mul_f64 v[205:206], v[201:202], s[18:19]
	v_fma_f64 v[213:214], v[128:129], s[36:37], v[213:214]
	v_add_f64 v[215:216], v[215:216], v[56:57]
	v_add_f64 v[58:59], v[223:224], v[58:59]
	v_fma_f64 v[223:224], v[145:146], s[18:19], v[62:63]
	v_fma_f64 v[217:218], v[84:85], s[28:29], -v[217:218]
	v_add_f64 v[209:210], v[219:220], v[209:210]
	v_mul_f64 v[219:220], v[118:119], s[28:29]
	v_add_f64 v[60:61], v[207:208], v[60:61]
	v_mul_f64 v[207:208], v[104:105], s[24:25]
	v_fma_f64 v[230:231], v[141:142], s[26:27], v[205:206]
	v_fma_f64 v[211:212], v[92:93], s[6:7], -v[211:212]
	v_mul_f64 v[236:237], v[161:162], s[30:31]
	v_mul_f64 v[240:241], v[149:150], s[46:47]
	v_add_f64 v[56:57], v[223:224], v[209:210]
	v_add_f64 v[209:210], v[213:214], v[215:216]
	v_mul_f64 v[213:214], v[143:144], s[18:19]
	v_fma_f64 v[215:216], v[94:95], s[34:35], v[219:220]
	v_add_f64 v[60:61], v[217:218], v[60:61]
	v_fma_f64 v[217:218], v[145:146], s[18:19], -v[62:63]
	v_mul_f64 v[223:224], v[120:121], s[44:45]
	v_fma_f64 v[62:63], v[64:65], s[28:29], v[207:208]
	v_add_f64 v[58:59], v[230:231], v[58:59]
	v_mul_f64 v[230:231], v[137:138], s[6:7]
	v_fma_f64 v[232:233], v[100:101], s[26:27], v[213:214]
	v_add_f64 v[215:216], v[6:7], v[215:216]
	v_add_f64 v[60:61], v[211:212], v[60:61]
	v_mul_f64 v[211:212], v[130:131], s[10:11]
	v_fma_f64 v[234:235], v[78:79], s[18:19], v[223:224]
	v_add_f64 v[62:63], v[4:5], v[62:63]
	v_fma_f64 v[219:220], v[94:95], s[24:25], v[219:220]
	v_fma_f64 v[238:239], v[90:91], s[48:49], v[230:231]
	v_fma_f64 v[221:222], v[98:99], s[16:17], -v[221:222]
	v_add_f64 v[215:216], v[232:233], v[215:216]
	v_mul_f64 v[232:233], v[197:198], s[4:5]
	v_fma_f64 v[242:243], v[84:85], s[6:7], v[211:212]
	v_fma_f64 v[213:214], v[100:101], s[44:45], v[213:214]
	v_add_f64 v[62:63], v[234:235], v[62:63]
	v_add_f64 v[219:220], v[6:7], v[219:220]
	v_fma_f64 v[234:235], v[96:97], s[40:41], v[236:237]
	v_mul_f64 v[244:245], v[177:178], s[38:39]
	v_add_f64 v[215:216], v[238:239], v[215:216]
	v_fma_f64 v[246:247], v[92:93], s[30:31], v[240:241]
	v_fma_f64 v[205:206], v[141:142], s[44:45], v[205:206]
	v_mul_f64 v[238:239], v[201:202], s[16:17]
	v_add_f64 v[62:63], v[242:243], v[62:63]
	v_fma_f64 v[230:231], v[90:91], s[10:11], v[230:231]
	v_add_f64 v[213:214], v[213:214], v[219:220]
	v_fma_f64 v[219:220], v[128:129], s[20:21], v[232:233]
	v_add_f64 v[215:216], v[234:235], v[215:216]
	v_add_f64 v[60:61], v[221:222], v[60:61]
	v_mul_f64 v[221:222], v[195:196], s[36:37]
	v_fma_f64 v[234:235], v[98:99], s[4:5], v[244:245]
	v_add_f64 v[242:243], v[246:247], v[62:63]
	v_fma_f64 v[236:237], v[96:97], s[46:47], v[236:237]
	v_add_f64 v[213:214], v[230:231], v[213:214]
	;; [unrolled: 2-line block ×3, first 2 shown]
	v_add_f64 v[62:63], v[205:206], v[209:210]
	v_fma_f64 v[205:206], v[64:65], s[28:29], -v[207:208]
	v_fma_f64 v[209:210], v[145:146], s[16:17], v[221:222]
	v_add_f64 v[219:220], v[234:235], v[242:243]
	v_add_f64 v[60:61], v[217:218], v[60:61]
	v_mul_f64 v[217:218], v[118:119], s[16:17]
	v_fma_f64 v[232:233], v[128:129], s[38:39], v[232:233]
	v_add_f64 v[213:214], v[236:237], v[213:214]
	v_fma_f64 v[223:224], v[78:79], s[18:19], -v[223:224]
	v_add_f64 v[234:235], v[4:5], v[205:206]
	v_add_f64 v[207:208], v[230:231], v[215:216]
	;; [unrolled: 1-line block ×3, first 2 shown]
	v_mul_f64 v[215:216], v[104:105], s[36:37]
	v_mul_f64 v[219:220], v[143:144], s[28:29]
	v_fma_f64 v[230:231], v[94:95], s[42:43], v[217:218]
	v_fma_f64 v[209:210], v[141:142], s[36:37], v[238:239]
	v_fma_f64 v[211:212], v[84:85], s[6:7], -v[211:212]
	v_add_f64 v[223:224], v[223:224], v[234:235]
	v_add_f64 v[213:214], v[232:233], v[213:214]
	v_fma_f64 v[232:233], v[92:93], s[30:31], -v[240:241]
	v_mul_f64 v[234:235], v[120:121], s[34:35]
	v_fma_f64 v[236:237], v[64:65], s[16:17], v[215:216]
	v_fma_f64 v[238:239], v[100:101], s[24:25], v[219:220]
	v_add_f64 v[230:231], v[6:7], v[230:231]
	v_mul_f64 v[240:241], v[137:138], s[4:5]
	v_add_f64 v[211:212], v[211:212], v[223:224]
	v_fma_f64 v[217:218], v[94:95], s[36:37], v[217:218]
	v_mul_f64 v[242:243], v[130:131], s[38:39]
	v_fma_f64 v[246:247], v[78:79], s[28:29], v[234:235]
	v_add_f64 v[236:237], v[4:5], v[236:237]
	v_mul_f64 v[223:224], v[161:162], s[18:19]
	v_add_f64 v[230:231], v[238:239], v[230:231]
	v_fma_f64 v[238:239], v[90:91], s[20:21], v[240:241]
	v_fma_f64 v[219:220], v[100:101], s[34:35], v[219:220]
	v_add_f64 v[217:218], v[6:7], v[217:218]
	v_add_f64 v[211:212], v[232:233], v[211:212]
	v_fma_f64 v[244:245], v[98:99], s[4:5], -v[244:245]
	v_add_f64 v[236:237], v[246:247], v[236:237]
	v_fma_f64 v[246:247], v[84:85], s[4:5], v[242:243]
	v_fma_f64 v[232:233], v[96:97], s[44:45], v[223:224]
	v_add_f64 v[230:231], v[238:239], v[230:231]
	v_mul_f64 v[238:239], v[149:150], s[26:27]
	v_add_f64 v[217:218], v[219:220], v[217:218]
	v_mul_f64 v[219:220], v[197:198], s[30:31]
	v_fma_f64 v[221:222], v[145:146], s[16:17], -v[221:222]
	v_add_f64 v[244:245], v[244:245], v[211:212]
	v_mul_f64 v[248:249], v[177:178], s[46:47]
	v_fma_f64 v[240:241], v[90:91], s[38:39], v[240:241]
	v_add_f64 v[236:237], v[246:247], v[236:237]
	v_fma_f64 v[246:247], v[92:93], s[18:19], v[238:239]
	v_mul_f64 v[175:176], v[118:119], s[4:5]
	v_mul_f64 v[199:200], v[118:119], s[6:7]
	v_add_f64 v[230:231], v[232:233], v[230:231]
	v_fma_f64 v[232:233], v[128:129], s[40:41], v[219:220]
	v_add_f64 v[211:212], v[209:210], v[213:214]
	v_add_f64 v[209:210], v[221:222], v[244:245]
	v_mul_f64 v[244:245], v[201:202], s[6:7]
	v_add_f64 v[213:214], v[240:241], v[217:218]
	v_fma_f64 v[217:218], v[98:99], s[30:31], v[248:249]
	v_add_f64 v[236:237], v[246:247], v[236:237]
	v_mul_f64 v[240:241], v[195:196], s[48:49]
	v_mul_f64 v[118:119], v[118:119], s[18:19]
	v_fma_f64 v[215:216], v[64:65], s[16:17], -v[215:216]
	v_mul_f64 v[171:172], v[143:144], s[6:7]
	v_mul_f64 v[187:188], v[143:144], s[16:17]
	v_fma_f64 v[223:224], v[96:97], s[26:27], v[223:224]
	v_add_f64 v[230:231], v[232:233], v[230:231]
	v_fma_f64 v[232:233], v[141:142], s[10:11], v[244:245]
	v_add_f64 v[217:218], v[217:218], v[236:237]
	v_fma_f64 v[236:237], v[145:146], s[6:7], v[240:241]
	v_mul_f64 v[143:144], v[143:144], s[30:31]
	v_mul_f64 v[246:247], v[104:105], s[26:27]
	v_fma_f64 v[104:105], v[94:95], s[44:45], v[118:119]
	v_fma_f64 v[234:235], v[78:79], s[28:29], -v[234:235]
	v_add_f64 v[250:251], v[4:5], v[215:216]
	v_fma_f64 v[94:95], v[94:95], s[26:27], v[118:119]
	v_add_f64 v[10:11], v[6:7], v[10:11]
	v_add_f64 v[8:9], v[4:5], v[8:9]
	v_mul_f64 v[159:160], v[137:138], s[18:19]
	v_mul_f64 v[185:186], v[137:138], s[30:31]
	v_add_f64 v[223:224], v[223:224], v[213:214]
	v_add_f64 v[215:216], v[232:233], v[230:231]
	;; [unrolled: 1-line block ×3, first 2 shown]
	v_fma_f64 v[217:218], v[100:101], s[46:47], v[143:144]
	v_fma_f64 v[232:233], v[84:85], s[4:5], -v[242:243]
	v_add_f64 v[234:235], v[234:235], v[250:251]
	v_mul_f64 v[137:138], v[137:138], s[16:17]
	v_fma_f64 v[100:101], v[100:101], s[40:41], v[143:144]
	v_add_f64 v[94:95], v[6:7], v[94:95]
	v_add_f64 v[181:182], v[181:182], v[199:200]
	;; [unrolled: 1-line block ×4, first 2 shown]
	v_mul_f64 v[165:166], v[64:65], s[4:5]
	v_mul_f64 v[169:170], v[64:65], s[6:7]
	;; [unrolled: 1-line block ×4, first 2 shown]
	v_fma_f64 v[219:220], v[128:129], s[46:47], v[219:220]
	v_mul_f64 v[120:121], v[120:121], s[40:41]
	v_fma_f64 v[230:231], v[64:65], s[18:19], v[246:247]
	v_add_f64 v[232:233], v[232:233], v[234:235]
	v_fma_f64 v[234:235], v[90:91], s[36:37], v[137:138]
	v_mul_f64 v[161:162], v[161:162], s[4:5]
	v_fma_f64 v[90:91], v[90:91], s[42:43], v[137:138]
	v_fma_f64 v[64:65], v[64:65], s[18:19], -v[246:247]
	v_add_f64 v[94:95], v[100:101], v[94:95]
	v_add_f64 v[100:101], v[133:134], v[187:188]
	;; [unrolled: 1-line block ×5, first 2 shown]
	v_mul_f64 v[163:164], v[78:79], s[6:7]
	v_mul_f64 v[173:174], v[78:79], s[16:17]
	;; [unrolled: 1-line block ×4, first 2 shown]
	v_add_f64 v[219:220], v[219:220], v[223:224]
	v_fma_f64 v[223:224], v[78:79], s[30:31], v[120:121]
	v_mul_f64 v[130:131], v[130:131], s[42:43]
	v_mul_f64 v[197:198], v[197:198], s[6:7]
	v_fma_f64 v[12:13], v[96:97], s[38:39], v[161:162]
	v_fma_f64 v[14:15], v[78:79], s[30:31], -v[120:121]
	v_add_f64 v[64:65], v[4:5], v[64:65]
	v_add_f64 v[78:79], v[90:91], v[94:95]
	;; [unrolled: 1-line block ×6, first 2 shown]
	v_fma_f64 v[16:17], v[128:129], s[10:11], v[197:198]
	v_fma_f64 v[18:19], v[84:85], s[16:17], -v[130:131]
	v_add_f64 v[14:15], v[14:15], v[64:65]
	v_add_f64 v[12:13], v[12:13], v[78:79]
	;; [unrolled: 1-line block ×6, first 2 shown]
	v_mul_f64 v[157:158], v[84:85], s[18:19]
	v_add_f64 v[104:105], v[6:7], v[104:105]
	v_add_f64 v[14:15], v[18:19], v[14:15]
	;; [unrolled: 1-line block ×8, first 2 shown]
	v_add_f64 v[28:29], v[169:170], -v[106:107]
	v_mul_f64 v[167:168], v[84:85], s[30:31]
	v_add_f64 v[230:231], v[4:5], v[230:231]
	v_add_f64 v[30:31], v[173:174], -v[110:111]
	v_add_f64 v[16:17], v[16:17], v[18:19]
	v_add_f64 v[18:19], v[165:166], -v[66:67]
	v_add_f64 v[10:11], v[10:11], v[34:35]
	v_add_f64 v[8:9], v[8:9], v[32:33]
	v_add_f64 v[66:67], v[74:75], v[171:172]
	v_add_f64 v[6:7], v[6:7], v[64:65]
	v_add_f64 v[64:65], v[163:164], -v[72:73]
	v_mul_f64 v[153:154], v[92:93], s[16:17]
	v_add_f64 v[32:33], v[82:83], v[159:160]
	v_add_f64 v[18:19], v[4:5], v[18:19]
	;; [unrolled: 1-line block ×6, first 2 shown]
	v_add_f64 v[34:35], v[157:158], -v[80:81]
	v_mul_f64 v[183:184], v[92:93], s[28:29]
	v_add_f64 v[28:29], v[167:168], -v[112:113]
	v_add_f64 v[18:19], v[64:65], v[18:19]
	v_add_f64 v[4:5], v[30:31], v[4:5]
	v_mul_f64 v[149:150], v[149:150], s[38:39]
	v_add_f64 v[104:105], v[217:218], v[104:105]
	v_fma_f64 v[238:239], v[92:93], s[18:19], -v[238:239]
	v_fma_f64 v[242:243], v[141:142], s[48:49], v[244:245]
	v_add_f64 v[223:224], v[223:224], v[230:231]
	v_fma_f64 v[244:245], v[84:85], s[16:17], v[130:131]
	v_add_f64 v[10:11], v[10:11], v[42:43]
	v_add_f64 v[8:9], v[8:9], v[40:41]
	v_mul_f64 v[179:180], v[98:99], s[28:29]
	v_add_f64 v[36:37], v[88:89], v[155:156]
	v_add_f64 v[6:7], v[32:33], v[6:7]
	v_add_f64 v[32:33], v[153:154], -v[86:87]
	v_add_f64 v[18:19], v[34:35], v[18:19]
	v_mul_f64 v[191:192], v[98:99], s[18:19]
	v_add_f64 v[30:31], v[183:184], -v[114:115]
	v_add_f64 v[4:5], v[28:29], v[4:5]
	v_mul_f64 v[177:178], v[177:178], s[10:11]
	v_fma_f64 v[22:23], v[92:93], s[4:5], -v[149:150]
	v_mul_f64 v[230:231], v[201:202], s[4:5]
	v_add_f64 v[234:235], v[234:235], v[104:105]
	v_add_f64 v[232:233], v[238:239], v[232:233]
	v_fma_f64 v[238:239], v[96:97], s[20:21], v[161:162]
	v_add_f64 v[104:105], v[242:243], v[219:220]
	v_fma_f64 v[219:220], v[98:99], s[30:31], -v[248:249]
	v_add_f64 v[223:224], v[244:245], v[223:224]
	v_fma_f64 v[242:243], v[92:93], s[4:5], v[149:150]
	v_add_f64 v[10:11], v[10:11], v[46:47]
	v_add_f64 v[8:9], v[8:9], v[44:45]
	v_mul_f64 v[221:222], v[145:146], s[30:31]
	v_mul_f64 v[236:237], v[201:202], s[30:31]
	;; [unrolled: 1-line block ×3, first 2 shown]
	v_add_f64 v[34:35], v[108:109], v[189:190]
	v_add_f64 v[6:7], v[36:37], v[6:7]
	v_add_f64 v[36:37], v[179:180], -v[102:103]
	v_add_f64 v[18:19], v[32:33], v[18:19]
	v_mul_f64 v[217:218], v[145:146], s[4:5]
	v_add_f64 v[28:29], v[191:192], -v[124:125]
	v_add_f64 v[4:5], v[30:31], v[4:5]
	v_mul_f64 v[118:119], v[195:196], s[24:25]
	v_fma_f64 v[26:27], v[98:99], s[6:7], -v[177:178]
	v_add_f64 v[14:15], v[22:23], v[14:15]
	v_add_f64 v[234:235], v[238:239], v[234:235]
	v_fma_f64 v[238:239], v[128:129], s[48:49], v[197:198]
	v_add_f64 v[195:196], v[219:220], v[232:233]
	v_fma_f64 v[232:233], v[98:99], s[6:7], v[177:178]
	v_add_f64 v[223:224], v[242:243], v[223:224]
	v_add_f64 v[22:23], v[151:152], v[230:231]
	;; [unrolled: 1-line block ×4, first 2 shown]
	v_fma_f64 v[20:21], v[141:142], s[24:25], v[201:202]
	v_add_f64 v[32:33], v[122:123], v[236:237]
	v_add_f64 v[34:35], v[34:35], v[6:7]
	v_add_f64 v[38:39], v[221:222], -v[116:117]
	v_add_f64 v[36:37], v[36:37], v[18:19]
	v_add_f64 v[30:31], v[217:218], -v[126:127]
	v_add_f64 v[4:5], v[28:29], v[4:5]
	v_fma_f64 v[24:25], v[145:146], s[28:29], -v[118:119]
	v_add_f64 v[26:27], v[26:27], v[14:15]
	v_fma_f64 v[240:241], v[145:146], s[6:7], -v[240:241]
	v_fma_f64 v[219:220], v[141:142], s[34:35], v[201:202]
	v_add_f64 v[234:235], v[238:239], v[234:235]
	v_fma_f64 v[143:144], v[145:146], s[28:29], v[118:119]
	v_add_f64 v[199:200], v[232:233], v[223:224]
	v_add_f64 v[10:11], v[22:23], v[16:17]
	v_add_f64 v[18:19], v[40:41], v[54:55]
	v_add_f64 v[16:17], v[8:9], v[52:53]
	v_add_f64 v[6:7], v[20:21], v[12:13]
	v_add_f64 v[14:15], v[32:33], v[34:35]
	v_add_f64 v[12:13], v[38:39], v[36:37]
	v_add_f64 v[8:9], v[30:31], v[4:5]
	v_add_f64 v[4:5], v[24:25], v[26:27]
	v_add_f64 v[102:103], v[240:241], v[195:196]
	v_add_lshl_u32 v24, v226, v228, 4
	v_add_f64 v[22:23], v[219:220], v[234:235]
	v_add_f64 v[20:21], v[143:144], v[199:200]
	ds_write_b128 v24, v[16:19]
	ds_write_b128 v24, v[12:15] offset:16
	ds_write_b128 v24, v[8:11] offset:32
	;; [unrolled: 1-line block ×12, first 2 shown]
.LBB0_7:
	s_or_b64 exec, exec, s[22:23]
	v_add_co_u32_e32 v44, vcc, -13, v229
	s_load_dwordx4 s[4:7], s[2:3], 0x0
	v_addc_co_u32_e64 v45, s[2:3], 0, -1, vcc
	v_cmp_gt_u16_e64 s[2:3], 13, v229
	v_cndmask_b32_e64 v46, v44, v229, s[2:3]
	v_mul_hi_i32_i24_e32 v5, 10, v46
	v_mul_i32_i24_e32 v4, 10, v46
	v_lshlrev_b64 v[4:5], 4, v[4:5]
	v_mov_b32_e32 v6, s9
	v_add_co_u32_e32 v47, vcc, s8, v4
	v_addc_co_u32_e32 v48, vcc, v6, v5, vcc
	s_waitcnt lgkmcnt(0)
	; wave barrier
	s_waitcnt lgkmcnt(0)
	global_load_dwordx4 v[40:43], v[47:48], off
	global_load_dwordx4 v[36:39], v[47:48], off offset:16
	global_load_dwordx4 v[16:19], v[47:48], off offset:32
	;; [unrolled: 1-line block ×9, first 2 shown]
	v_add_lshl_u32 v230, v226, v229, 4
	ds_read_b128 v[47:50], v230
	ds_read_b128 v[51:54], v230 offset:416
	ds_read_b128 v[55:58], v230 offset:832
	;; [unrolled: 1-line block ×10, first 2 shown]
	s_mov_b32 s30, 0xf8bb580b
	s_mov_b32 s18, 0x43842ef
	s_mov_b32 s26, 0xbb3a28a1
	s_mov_b32 s34, 0xfd768dbf
	s_mov_b32 s31, 0xbfe14ced
	s_mov_b32 s21, 0xbfed1bb4
	s_mov_b32 s20, 0x8eee2c13
	s_mov_b32 s19, 0xbfefac9e
	s_mov_b32 s27, 0xbfe82f19
	s_mov_b32 s35, 0xbfd207e7
	s_mov_b32 s22, 0x8764f0ba
	s_mov_b32 s23, 0x3feaeb8c
	s_mov_b32 s10, 0xd9c712b6
	s_mov_b32 s16, 0x640f44db
	s_mov_b32 s24, 0x7f775887
	s_mov_b32 s28, 0x9bcd5057
	s_mov_b32 s11, 0x3fda9628
	s_mov_b32 s17, 0xbfc2375f
	s_mov_b32 s25, 0xbfe4f49e
	s_mov_b32 s29, 0xbfeeb42a
	s_mov_b32 s41, 0x3fd207e7
	s_mov_b32 s40, s34
	s_mov_b32 s39, 0x3fefac9e
	s_mov_b32 s38, s18
	s_mov_b32 s37, 0x3fe14ced
	s_mov_b32 s36, s30
	v_mov_b32_e32 v67, 0x8f
	v_cmp_lt_u16_e32 vcc, 12, v229
	v_cndmask_b32_e32 v67, 0, v67, vcc
	v_add_u32_e32 v46, v46, v67
	v_add_lshl_u32 v232, v226, v46, 4
	s_waitcnt lgkmcnt(0)
	; wave barrier
	s_waitcnt vmcnt(9) lgkmcnt(0)
	v_mul_f64 v[98:99], v[51:52], v[42:43]
	v_mul_f64 v[96:97], v[53:54], v[42:43]
	s_waitcnt vmcnt(8)
	v_mul_f64 v[102:103], v[55:56], v[38:39]
	v_mul_f64 v[100:101], v[57:58], v[38:39]
	s_waitcnt vmcnt(7)
	v_mul_f64 v[106:107], v[59:60], v[18:19]
	s_waitcnt vmcnt(6)
	v_mul_f64 v[110:111], v[63:64], v[10:11]
	v_mul_f64 v[104:105], v[61:62], v[18:19]
	;; [unrolled: 1-line block ×3, first 2 shown]
	s_waitcnt vmcnt(1)
	v_mul_f64 v[130:131], v[88:89], v[30:31]
	v_fma_f64 v[53:54], v[53:54], v[40:41], v[98:99]
	v_mul_f64 v[128:129], v[90:91], v[30:31]
	s_waitcnt vmcnt(0)
	v_mul_f64 v[135:136], v[92:93], v[34:35]
	v_fma_f64 v[57:58], v[57:58], v[36:37], v[102:103]
	v_mul_f64 v[133:134], v[94:95], v[34:35]
	v_fma_f64 v[51:52], v[51:52], v[40:41], -v[96:97]
	v_fma_f64 v[61:62], v[61:62], v[16:17], v[106:107]
	v_fma_f64 v[90:91], v[90:91], v[28:29], v[130:131]
	v_add_f64 v[98:99], v[49:50], v[53:54]
	v_fma_f64 v[65:66], v[65:66], v[8:9], v[110:111]
	v_fma_f64 v[94:95], v[94:95], v[32:33], v[135:136]
	v_mul_f64 v[112:113], v[74:75], v[26:27]
	v_mul_f64 v[114:115], v[72:73], v[26:27]
	;; [unrolled: 1-line block ×4, first 2 shown]
	v_add_f64 v[106:107], v[57:58], v[90:91]
	v_add_f64 v[110:111], v[57:58], -v[90:91]
	v_add_f64 v[57:58], v[98:99], v[57:58]
	v_mul_f64 v[124:125], v[86:87], v[6:7]
	v_fma_f64 v[55:56], v[55:56], v[36:37], -v[100:101]
	v_fma_f64 v[88:89], v[88:89], v[28:29], -v[128:129]
	v_add_f64 v[96:97], v[47:48], v[51:52]
	v_add_f64 v[102:103], v[53:54], v[94:95]
	v_add_f64 v[53:54], v[53:54], -v[94:95]
	v_mul_f64 v[118:119], v[76:77], v[22:23]
	v_add_f64 v[57:58], v[57:58], v[61:62]
	v_mul_f64 v[122:123], v[80:81], v[14:15]
	v_mul_f64 v[126:127], v[84:85], v[6:7]
	v_fma_f64 v[59:60], v[59:60], v[16:17], -v[104:105]
	v_fma_f64 v[63:64], v[63:64], v[8:9], -v[108:109]
	;; [unrolled: 1-line block ×3, first 2 shown]
	v_fma_f64 v[74:75], v[74:75], v[24:25], v[114:115]
	v_fma_f64 v[76:77], v[76:77], v[20:21], -v[116:117]
	v_fma_f64 v[80:81], v[80:81], v[12:13], -v[120:121]
	;; [unrolled: 1-line block ×4, first 2 shown]
	v_add_f64 v[104:105], v[55:56], v[88:89]
	v_add_f64 v[108:109], v[55:56], -v[88:89]
	v_add_f64 v[55:56], v[96:97], v[55:56]
	v_mul_f64 v[96:97], v[53:54], s[30:31]
	v_mul_f64 v[112:113], v[53:54], s[20:21]
	;; [unrolled: 1-line block ×5, first 2 shown]
	v_add_f64 v[53:54], v[57:58], v[65:66]
	v_fma_f64 v[78:79], v[78:79], v[20:21], v[118:119]
	v_add_f64 v[100:101], v[51:52], v[92:93]
	v_add_f64 v[51:52], v[51:52], -v[92:93]
	v_add_f64 v[55:56], v[55:56], v[59:60]
	v_fma_f64 v[82:83], v[82:83], v[12:13], v[122:123]
	v_fma_f64 v[86:87], v[86:87], v[4:5], v[126:127]
	v_mul_f64 v[130:131], v[108:109], s[20:21]
	v_add_f64 v[53:54], v[53:54], v[74:75]
	v_mul_f64 v[128:129], v[110:111], s[20:21]
	v_fma_f64 v[57:58], v[100:101], s[22:23], -v[96:97]
	v_mul_f64 v[98:99], v[51:52], s[30:31]
	v_mul_f64 v[114:115], v[51:52], s[20:21]
	;; [unrolled: 1-line block ×5, first 2 shown]
	v_add_f64 v[51:52], v[55:56], v[63:64]
	v_add_f64 v[53:54], v[53:54], v[78:79]
	v_mul_f64 v[55:56], v[110:111], s[26:27]
	v_fma_f64 v[133:134], v[102:103], s[22:23], v[98:99]
	v_fma_f64 v[96:97], v[100:101], s[22:23], v[96:97]
	v_fma_f64 v[135:136], v[100:101], s[10:11], -v[112:113]
	v_fma_f64 v[112:113], v[100:101], s[10:11], v[112:113]
	v_fma_f64 v[139:140], v[100:101], s[16:17], -v[116:117]
	v_add_f64 v[51:52], v[51:52], v[72:73]
	v_add_f64 v[53:54], v[53:54], v[82:83]
	v_fma_f64 v[141:142], v[102:103], s[16:17], v[118:119]
	v_fma_f64 v[116:117], v[100:101], s[16:17], v[116:117]
	v_fma_f64 v[118:119], v[102:103], s[16:17], -v[118:119]
	v_fma_f64 v[143:144], v[100:101], s[24:25], -v[120:121]
	v_fma_f64 v[145:146], v[102:103], s[24:25], v[122:123]
	v_fma_f64 v[120:121], v[100:101], s[24:25], v[120:121]
	v_add_f64 v[51:52], v[51:52], v[76:77]
	v_add_f64 v[53:54], v[53:54], v[86:87]
	v_fma_f64 v[147:148], v[100:101], s[28:29], -v[124:125]
	v_add_f64 v[133:134], v[49:50], v[133:134]
	v_fma_f64 v[98:99], v[102:103], s[22:23], -v[98:99]
	v_fma_f64 v[137:138], v[102:103], s[10:11], v[114:115]
	v_fma_f64 v[114:115], v[102:103], s[10:11], -v[114:115]
	v_fma_f64 v[122:123], v[102:103], s[24:25], -v[122:123]
	v_add_f64 v[51:52], v[51:52], v[80:81]
	v_add_f64 v[53:54], v[53:54], v[90:91]
	v_fma_f64 v[149:150], v[102:103], s[28:29], v[126:127]
	v_add_f64 v[57:58], v[47:48], v[57:58]
	v_add_f64 v[96:97], v[47:48], v[96:97]
	;; [unrolled: 1-line block ×7, first 2 shown]
	v_fma_f64 v[94:95], v[100:101], s[28:29], v[124:125]
	v_fma_f64 v[124:125], v[106:107], s[10:11], v[130:131]
	v_add_f64 v[116:117], v[47:48], v[116:117]
	v_add_f64 v[90:91], v[47:48], v[143:144]
	v_add_f64 v[120:121], v[47:48], v[120:121]
	v_add_f64 v[143:144], v[47:48], v[147:148]
	v_add_f64 v[51:52], v[51:52], v[88:89]
	v_add_f64 v[88:89], v[49:50], v[118:119]
	v_add_f64 v[118:119], v[49:50], v[145:146]
	v_fma_f64 v[100:101], v[102:103], s[28:29], -v[126:127]
	v_fma_f64 v[102:103], v[104:105], s[10:11], -v[128:129]
	v_fma_f64 v[126:127], v[104:105], s[10:11], v[128:129]
	v_fma_f64 v[128:129], v[106:107], s[10:11], -v[130:131]
	v_fma_f64 v[130:131], v[104:105], s[24:25], -v[55:56]
	v_mul_f64 v[145:146], v[108:109], s[26:27]
	v_add_f64 v[47:48], v[47:48], v[94:95]
	v_add_f64 v[94:95], v[124:125], v[133:134]
	v_mul_f64 v[124:125], v[110:111], s[40:41]
	v_add_f64 v[98:99], v[49:50], v[98:99]
	v_add_f64 v[137:138], v[49:50], v[137:138]
	;; [unrolled: 1-line block ×11, first 2 shown]
	v_fma_f64 v[102:103], v[106:107], s[24:25], v[145:146]
	v_mul_f64 v[126:127], v[108:109], s[40:41]
	v_fma_f64 v[130:131], v[106:107], s[24:25], -v[145:146]
	v_fma_f64 v[133:134], v[104:105], s[28:29], -v[124:125]
	v_fma_f64 v[124:125], v[104:105], s[28:29], v[124:125]
	v_mul_f64 v[145:146], v[108:109], s[38:39]
	v_add_f64 v[98:99], v[128:129], v[98:99]
	v_mul_f64 v[128:129], v[110:111], s[38:39]
	v_add_f64 v[102:103], v[102:103], v[137:138]
	v_fma_f64 v[135:136], v[106:107], s[28:29], v[126:127]
	v_fma_f64 v[126:127], v[106:107], s[28:29], -v[126:127]
	v_fma_f64 v[55:56], v[104:105], s[24:25], v[55:56]
	v_add_f64 v[116:117], v[124:125], v[116:117]
	v_fma_f64 v[124:125], v[106:107], s[16:17], v[145:146]
	v_mul_f64 v[110:111], v[110:111], s[36:37]
	v_fma_f64 v[137:138], v[104:105], s[16:17], -v[128:129]
	v_mul_f64 v[108:109], v[108:109], s[36:37]
	s_mov_b32 s21, 0x3fed1bb4
	v_add_f64 v[88:89], v[126:127], v[88:89]
	v_fma_f64 v[126:127], v[104:105], s[16:17], v[128:129]
	v_add_f64 v[128:129], v[61:62], -v[86:87]
	v_add_f64 v[118:119], v[124:125], v[118:119]
	v_add_f64 v[124:125], v[59:60], -v[84:85]
	v_add_f64 v[55:56], v[55:56], v[112:113]
	v_add_f64 v[112:113], v[130:131], v[114:115]
	;; [unrolled: 1-line block ×4, first 2 shown]
	v_fma_f64 v[133:134], v[106:107], s[16:17], -v[145:146]
	v_add_f64 v[120:121], v[126:127], v[120:121]
	v_add_f64 v[59:60], v[59:60], v[84:85]
	v_mul_f64 v[84:85], v[128:129], s[18:19]
	v_fma_f64 v[126:127], v[104:105], s[22:23], -v[110:111]
	v_fma_f64 v[135:136], v[106:107], s[22:23], v[108:109]
	v_add_f64 v[61:62], v[61:62], v[86:87]
	v_mul_f64 v[86:87], v[124:125], s[18:19]
	v_add_f64 v[122:123], v[133:134], v[122:123]
	v_fma_f64 v[104:105], v[104:105], s[22:23], v[110:111]
	v_fma_f64 v[106:107], v[106:107], s[22:23], -v[108:109]
	v_fma_f64 v[108:109], v[59:60], s[16:17], -v[84:85]
	v_add_f64 v[110:111], v[126:127], v[143:144]
	v_add_f64 v[92:93], v[135:136], v[92:93]
	v_mul_f64 v[126:127], v[128:129], s[40:41]
	v_mul_f64 v[133:134], v[124:125], s[40:41]
	v_fma_f64 v[135:136], v[61:62], s[16:17], v[86:87]
	v_add_f64 v[47:48], v[104:105], v[47:48]
	v_add_f64 v[49:50], v[106:107], v[49:50]
	;; [unrolled: 1-line block ×3, first 2 shown]
	v_fma_f64 v[84:85], v[59:60], s[16:17], v[84:85]
	v_fma_f64 v[86:87], v[61:62], s[16:17], -v[86:87]
	v_fma_f64 v[104:105], v[59:60], s[28:29], -v[126:127]
	v_fma_f64 v[106:107], v[61:62], s[28:29], v[133:134]
	v_add_f64 v[94:95], v[135:136], v[94:95]
	v_mul_f64 v[108:109], v[128:129], s[20:21]
	v_mul_f64 v[135:136], v[124:125], s[20:21]
	v_add_f64 v[90:91], v[137:138], v[90:91]
	v_add_f64 v[84:85], v[84:85], v[96:97]
	;; [unrolled: 1-line block ×5, first 2 shown]
	v_fma_f64 v[100:101], v[59:60], s[28:29], v[126:127]
	v_fma_f64 v[102:103], v[61:62], s[28:29], -v[133:134]
	v_fma_f64 v[104:105], v[59:60], s[10:11], -v[108:109]
	v_fma_f64 v[106:107], v[61:62], s[10:11], v[135:136]
	v_mul_f64 v[126:127], v[128:129], s[30:31]
	v_mul_f64 v[133:134], v[124:125], s[30:31]
	v_fma_f64 v[108:109], v[59:60], s[10:11], v[108:109]
	v_fma_f64 v[135:136], v[61:62], s[10:11], -v[135:136]
	v_add_f64 v[55:56], v[100:101], v[55:56]
	v_add_f64 v[100:101], v[102:103], v[112:113]
	;; [unrolled: 1-line block ×4, first 2 shown]
	v_fma_f64 v[106:107], v[59:60], s[22:23], -v[126:127]
	v_fma_f64 v[112:113], v[61:62], s[22:23], v[133:134]
	v_add_f64 v[108:109], v[108:109], v[116:117]
	v_mul_f64 v[114:115], v[128:129], s[26:27]
	v_mul_f64 v[116:117], v[124:125], s[26:27]
	v_fma_f64 v[124:125], v[59:60], s[22:23], v[126:127]
	v_fma_f64 v[126:127], v[61:62], s[22:23], -v[133:134]
	v_add_f64 v[88:89], v[135:136], v[88:89]
	v_add_f64 v[90:91], v[106:107], v[90:91]
	;; [unrolled: 1-line block ×3, first 2 shown]
	v_add_f64 v[112:113], v[65:66], -v[82:83]
	v_add_f64 v[118:119], v[63:64], -v[80:81]
	v_fma_f64 v[128:129], v[59:60], s[24:25], -v[114:115]
	v_fma_f64 v[130:131], v[61:62], s[24:25], v[116:117]
	v_add_f64 v[63:64], v[63:64], v[80:81]
	v_add_f64 v[65:66], v[65:66], v[82:83]
	v_fma_f64 v[59:60], v[59:60], s[24:25], v[114:115]
	v_fma_f64 v[61:62], v[61:62], s[24:25], -v[116:117]
	v_mul_f64 v[114:115], v[112:113], s[38:39]
	v_mul_f64 v[82:83], v[118:119], s[26:27]
	;; [unrolled: 1-line block ×4, first 2 shown]
	v_add_f64 v[122:123], v[126:127], v[122:123]
	v_add_f64 v[120:121], v[124:125], v[120:121]
	v_add_f64 v[47:48], v[59:60], v[47:48]
	v_add_f64 v[49:50], v[61:62], v[49:50]
	v_fma_f64 v[59:60], v[63:64], s[16:17], -v[114:115]
	v_fma_f64 v[126:127], v[65:66], s[24:25], v[82:83]
	v_fma_f64 v[82:83], v[65:66], s[24:25], -v[82:83]
	v_fma_f64 v[61:62], v[65:66], s[16:17], v[116:117]
	;; [unrolled: 2-line block ×3, first 2 shown]
	v_add_f64 v[110:111], v[128:129], v[110:111]
	v_add_f64 v[92:93], v[130:131], v[92:93]
	;; [unrolled: 1-line block ×3, first 2 shown]
	v_mul_f64 v[96:97], v[112:113], s[34:35]
	v_add_f64 v[82:83], v[82:83], v[86:87]
	v_mul_f64 v[86:87], v[118:119], s[30:31]
	v_add_f64 v[61:62], v[61:62], v[98:99]
	;; [unrolled: 2-line block ×4, first 2 shown]
	v_fma_f64 v[114:115], v[63:64], s[16:17], v[114:115]
	v_fma_f64 v[128:129], v[63:64], s[28:29], -v[96:97]
	v_fma_f64 v[126:127], v[65:66], s[22:23], v[86:87]
	v_fma_f64 v[86:87], v[65:66], s[22:23], -v[86:87]
	v_fma_f64 v[130:131], v[65:66], s[28:29], v[98:99]
	v_add_f64 v[57:58], v[124:125], v[57:58]
	v_fma_f64 v[124:125], v[63:64], s[22:23], -v[84:85]
	v_fma_f64 v[84:85], v[63:64], s[22:23], v[84:85]
	v_fma_f64 v[116:117], v[65:66], s[16:17], -v[116:117]
	v_add_f64 v[133:134], v[114:115], v[55:56]
	v_mul_f64 v[55:56], v[112:113], s[20:21]
	v_add_f64 v[86:87], v[86:87], v[88:89]
	v_add_f64 v[88:89], v[128:129], v[90:91]
	;; [unrolled: 1-line block ×3, first 2 shown]
	v_add_f64 v[106:107], v[74:75], -v[78:79]
	v_mul_f64 v[112:113], v[118:119], s[20:21]
	v_add_f64 v[84:85], v[84:85], v[108:109]
	v_add_f64 v[108:109], v[72:73], -v[76:77]
	v_add_f64 v[100:101], v[116:117], v[100:101]
	v_add_f64 v[76:77], v[72:73], v[76:77]
	v_fma_f64 v[114:115], v[63:64], s[10:11], -v[55:56]
	v_add_f64 v[78:79], v[74:75], v[78:79]
	v_mul_f64 v[72:73], v[106:107], s[34:35]
	v_fma_f64 v[116:117], v[65:66], s[10:11], v[112:113]
	v_fma_f64 v[96:97], v[63:64], s[28:29], v[96:97]
	v_mul_f64 v[74:75], v[108:109], s[34:35]
	v_fma_f64 v[98:99], v[65:66], s[28:29], -v[98:99]
	v_fma_f64 v[55:56], v[63:64], s[10:11], v[55:56]
	v_fma_f64 v[63:64], v[65:66], s[10:11], -v[112:113]
	v_add_f64 v[110:111], v[114:115], v[110:111]
	v_fma_f64 v[65:66], v[76:77], s[28:29], -v[72:73]
	v_add_f64 v[92:93], v[116:117], v[92:93]
	v_mul_f64 v[114:115], v[106:107], s[36:37]
	v_mul_f64 v[116:117], v[108:109], s[36:37]
	v_fma_f64 v[112:113], v[78:79], s[28:29], v[74:75]
	v_add_f64 v[96:97], v[96:97], v[120:121]
	v_add_f64 v[118:119], v[55:56], v[47:48]
	;; [unrolled: 1-line block ×4, first 2 shown]
	v_fma_f64 v[55:56], v[76:77], s[28:29], v[72:73]
	v_fma_f64 v[57:58], v[78:79], s[28:29], -v[74:75]
	v_fma_f64 v[63:64], v[76:77], s[22:23], -v[114:115]
	v_fma_f64 v[65:66], v[78:79], s[22:23], v[116:117]
	v_mul_f64 v[72:73], v[106:107], s[26:27]
	v_mul_f64 v[74:75], v[108:109], s[26:27]
	v_add_f64 v[49:50], v[112:113], v[94:95]
	v_fma_f64 v[94:95], v[76:77], s[22:23], v[114:115]
	v_fma_f64 v[116:117], v[78:79], s[22:23], -v[116:117]
	v_add_f64 v[112:113], v[55:56], v[80:81]
	v_add_f64 v[114:115], v[57:58], v[82:83]
	v_add_f64 v[55:56], v[63:64], v[59:60]
	v_add_f64 v[57:58], v[65:66], v[61:62]
	v_fma_f64 v[63:64], v[76:77], s[24:25], -v[72:73]
	v_fma_f64 v[65:66], v[78:79], s[24:25], v[74:75]
	v_fma_f64 v[72:73], v[76:77], s[24:25], v[72:73]
	v_fma_f64 v[74:75], v[78:79], s[24:25], -v[74:75]
	v_mul_f64 v[80:81], v[106:107], s[20:21]
	v_mul_f64 v[82:83], v[108:109], s[20:21]
	v_add_f64 v[102:103], v[124:125], v[102:103]
	v_add_f64 v[104:105], v[126:127], v[104:105]
	;; [unrolled: 1-line block ×4, first 2 shown]
	v_mul_f64 v[94:95], v[106:107], s[18:19]
	v_mul_f64 v[100:101], v[108:109], s[18:19]
	v_add_f64 v[72:73], v[72:73], v[84:85]
	v_add_f64 v[74:75], v[74:75], v[86:87]
	v_fma_f64 v[84:85], v[76:77], s[10:11], -v[80:81]
	v_fma_f64 v[86:87], v[78:79], s[10:11], v[82:83]
	v_add_f64 v[63:64], v[63:64], v[102:103]
	v_add_f64 v[65:66], v[65:66], v[104:105]
	v_fma_f64 v[102:103], v[76:77], s[16:17], -v[94:95]
	v_fma_f64 v[104:105], v[78:79], s[16:17], v[100:101]
	v_fma_f64 v[94:95], v[76:77], s[16:17], v[94:95]
	v_fma_f64 v[100:101], v[78:79], s[16:17], -v[100:101]
	v_add_f64 v[98:99], v[98:99], v[122:123]
	v_fma_f64 v[80:81], v[76:77], s[10:11], v[80:81]
	v_fma_f64 v[82:83], v[78:79], s[10:11], -v[82:83]
	v_add_f64 v[76:77], v[84:85], v[88:89]
	v_add_f64 v[78:79], v[86:87], v[90:91]
	v_add_f64 v[84:85], v[102:103], v[110:111]
	v_add_f64 v[86:87], v[104:105], v[92:93]
	v_add_f64 v[88:89], v[94:95], v[118:119]
	v_add_f64 v[90:91], v[100:101], v[120:121]
	v_add_f64 v[80:81], v[80:81], v[96:97]
	v_add_f64 v[82:83], v[82:83], v[98:99]
	ds_write_b128 v232, v[51:54]
	ds_write_b128 v232, v[47:50] offset:208
	ds_write_b128 v232, v[55:58] offset:416
	;; [unrolled: 1-line block ×10, first 2 shown]
	s_waitcnt lgkmcnt(0)
	; wave barrier
	s_waitcnt lgkmcnt(0)
	ds_read_b128 v[84:87], v230
	ds_read_b128 v[92:95], v230 offset:416
	ds_read_b128 v[72:75], v230 offset:2704
	;; [unrolled: 1-line block ×9, first 2 shown]
	s_and_saveexec_b64 s[10:11], s[2:3]
	s_cbranch_execz .LBB0_9
; %bb.8:
	ds_read_b128 v[112:115], v230 offset:2080
	ds_read_b128 v[68:71], v230 offset:4368
	v_add_co_u32_e32 v44, vcc, 0x82, v229
	v_addc_co_u32_e64 v45, s[16:17], 0, 0, vcc
.LBB0_9:
	s_or_b64 exec, exec, s[10:11]
	v_lshlrev_b64 v[44:45], 4, v[44:45]
	v_mov_b32_e32 v46, s9
	v_add_co_u32_e32 v44, vcc, s8, v44
	v_addc_co_u32_e32 v45, vcc, v46, v45, vcc
	global_load_dwordx4 v[48:51], v132, s[8:9] offset:2080
	global_load_dwordx4 v[52:55], v132, s[8:9] offset:2496
	;; [unrolled: 1-line block ×5, first 2 shown]
	v_lshl_add_u32 v231, v229, 4, v227
	global_load_dwordx4 v[44:47], v[44:45], off offset:2080
	v_add_u32_e32 v233, v132, v227
	s_waitcnt vmcnt(5) lgkmcnt(3)
	v_mul_f64 v[104:105], v[98:99], v[50:51]
	v_mul_f64 v[106:107], v[96:97], v[50:51]
	s_waitcnt vmcnt(4)
	v_mul_f64 v[120:121], v[74:75], v[54:55]
	v_mul_f64 v[122:123], v[72:73], v[54:55]
	s_waitcnt vmcnt(3)
	v_mul_f64 v[124:125], v[78:79], v[58:59]
	v_mul_f64 v[126:127], v[76:77], v[58:59]
	s_waitcnt vmcnt(2) lgkmcnt(1)
	v_mul_f64 v[128:129], v[90:91], v[62:63]
	v_mul_f64 v[130:131], v[88:89], v[62:63]
	s_waitcnt vmcnt(1) lgkmcnt(0)
	v_mul_f64 v[133:134], v[82:83], v[66:67]
	v_mul_f64 v[135:136], v[80:81], v[66:67]
	s_waitcnt vmcnt(0)
	v_mul_f64 v[137:138], v[70:71], v[46:47]
	v_mul_f64 v[139:140], v[68:69], v[46:47]
	v_fma_f64 v[96:97], v[96:97], v[48:49], -v[104:105]
	v_fma_f64 v[98:99], v[98:99], v[48:49], v[106:107]
	v_fma_f64 v[104:105], v[72:73], v[52:53], -v[120:121]
	v_fma_f64 v[106:107], v[74:75], v[52:53], v[122:123]
	;; [unrolled: 2-line block ×6, first 2 shown]
	v_add_f64 v[72:73], v[84:85], -v[96:97]
	v_add_f64 v[74:75], v[86:87], -v[98:99]
	;; [unrolled: 1-line block ×12, first 2 shown]
	v_fma_f64 v[68:69], v[84:85], 2.0, -v[72:73]
	v_fma_f64 v[70:71], v[86:87], 2.0, -v[74:75]
	;; [unrolled: 1-line block ×12, first 2 shown]
	ds_write_b128 v231, v[72:75] offset:2288
	ds_write_b128 v231, v[76:79] offset:2704
	;; [unrolled: 1-line block ×4, first 2 shown]
	ds_write_b128 v231, v[68:71]
	ds_write_b128 v231, v[84:87] offset:416
	ds_write_b128 v231, v[92:95] offset:832
	;; [unrolled: 1-line block ×5, first 2 shown]
	s_and_saveexec_b64 s[8:9], s[2:3]
	s_cbranch_execz .LBB0_11
; %bb.10:
	ds_write_b128 v231, v[112:115] offset:2080
	ds_write_b128 v231, v[104:107] offset:4368
.LBB0_11:
	s_or_b64 exec, exec, s[8:9]
	s_waitcnt lgkmcnt(0)
	; wave barrier
	s_waitcnt lgkmcnt(0)
	s_and_saveexec_b64 s[8:9], s[0:1]
	s_cbranch_execz .LBB0_13
; %bb.12:
	v_add_co_u32_e32 v120, vcc, s14, v132
	v_mov_b32_e32 v116, s15
	v_addc_co_u32_e32 v121, vcc, 0, v116, vcc
	v_add_co_u32_e32 v130, vcc, 0x11e0, v120
	v_addc_co_u32_e32 v131, vcc, 0, v121, vcc
	v_add_co_u32_e32 v122, vcc, 0x1000, v120
	v_addc_co_u32_e32 v123, vcc, 0, v121, vcc
	global_load_dwordx4 v[122:125], v[122:123], off offset:480
	ds_read_b128 v[116:119], v231
	s_movk_i32 s10, 0x2000
	v_add_co_u32_e32 v120, vcc, s10, v120
	v_addc_co_u32_e32 v121, vcc, 0, v121, vcc
	s_waitcnt vmcnt(0) lgkmcnt(0)
	v_mul_f64 v[126:127], v[118:119], v[124:125]
	v_fma_f64 v[126:127], v[116:117], v[122:123], -v[126:127]
	v_mul_f64 v[116:117], v[116:117], v[124:125]
	v_fma_f64 v[128:129], v[118:119], v[122:123], v[116:117]
	global_load_dwordx4 v[122:125], v[130:131], off offset:352
	ds_read_b128 v[116:119], v231 offset:352
	ds_write_b128 v231, v[126:129]
	s_waitcnt vmcnt(0) lgkmcnt(1)
	v_mul_f64 v[126:127], v[118:119], v[124:125]
	v_fma_f64 v[126:127], v[116:117], v[122:123], -v[126:127]
	v_mul_f64 v[116:117], v[116:117], v[124:125]
	v_fma_f64 v[128:129], v[118:119], v[122:123], v[116:117]
	global_load_dwordx4 v[122:125], v[130:131], off offset:704
	ds_read_b128 v[116:119], v231 offset:704
	ds_write_b128 v231, v[126:129] offset:352
	s_waitcnt vmcnt(0) lgkmcnt(1)
	v_mul_f64 v[126:127], v[118:119], v[124:125]
	v_fma_f64 v[126:127], v[116:117], v[122:123], -v[126:127]
	v_mul_f64 v[116:117], v[116:117], v[124:125]
	v_fma_f64 v[128:129], v[118:119], v[122:123], v[116:117]
	global_load_dwordx4 v[122:125], v[130:131], off offset:1056
	ds_read_b128 v[116:119], v231 offset:1056
	ds_write_b128 v231, v[126:129] offset:704
	;; [unrolled: 8-line block ×11, first 2 shown]
	s_waitcnt vmcnt(0) lgkmcnt(1)
	v_mul_f64 v[124:125], v[118:119], v[122:123]
	v_fma_f64 v[124:125], v[116:117], v[120:121], -v[124:125]
	v_mul_f64 v[116:117], v[116:117], v[122:123]
	v_fma_f64 v[126:127], v[118:119], v[120:121], v[116:117]
	ds_write_b128 v231, v[124:127] offset:4224
.LBB0_13:
	s_or_b64 exec, exec, s[8:9]
	s_waitcnt lgkmcnt(0)
	; wave barrier
	s_waitcnt lgkmcnt(0)
	s_and_saveexec_b64 s[8:9], s[0:1]
	s_cbranch_execz .LBB0_15
; %bb.14:
	ds_read_b128 v[68:71], v231
	ds_read_b128 v[72:75], v231 offset:352
	ds_read_b128 v[84:87], v231 offset:704
	;; [unrolled: 1-line block ×12, first 2 shown]
.LBB0_15:
	s_or_b64 exec, exec, s[8:9]
	s_waitcnt lgkmcnt(0)
	v_add_f64 v[137:138], v[74:75], -v[2:3]
	v_add_f64 v[135:136], v[74:75], v[2:3]
	s_mov_b32 s8, 0x1ea71119
	s_mov_b32 s10, 0x42a4c3d2
	;; [unrolled: 1-line block ×4, first 2 shown]
	v_add_f64 v[133:134], v[72:73], v[0:1]
	v_add_f64 v[175:176], v[72:73], -v[0:1]
	v_mul_f64 v[191:192], v[137:138], s[10:11]
	v_mul_f64 v[193:194], v[135:136], s[8:9]
	v_add_f64 v[143:144], v[86:87], -v[106:107]
	v_add_f64 v[141:142], v[86:87], v[106:107]
	s_mov_b32 s22, 0x2ef20147
	s_mov_b32 s18, 0xb2365da1
	;; [unrolled: 1-line block ×4, first 2 shown]
	v_add_f64 v[139:140], v[84:85], v[104:105]
	v_add_f64 v[183:184], v[84:85], -v[104:105]
	v_fma_f64 v[116:117], v[133:134], s[8:9], -v[191:192]
	v_fma_f64 v[118:119], v[175:176], s[10:11], v[193:194]
	v_mul_f64 v[189:190], v[143:144], s[22:23]
	v_mul_f64 v[201:202], v[141:142], s[18:19]
	v_add_f64 v[149:150], v[78:79], -v[114:115]
	v_add_f64 v[147:148], v[78:79], v[114:115]
	s_mov_b32 s16, 0x93053d00
	s_mov_b32 s26, 0x4bc48dbf
	;; [unrolled: 1-line block ×4, first 2 shown]
	v_fma_f64 v[120:121], v[139:140], s[18:19], -v[189:190]
	v_add_f64 v[116:117], v[68:69], v[116:117]
	v_add_f64 v[118:119], v[70:71], v[118:119]
	v_fma_f64 v[122:123], v[183:184], s[22:23], v[201:202]
	v_add_f64 v[145:146], v[76:77], v[112:113]
	v_add_f64 v[165:166], v[76:77], -v[112:113]
	v_mul_f64 v[124:125], v[149:150], s[26:27]
	v_mul_f64 v[195:196], v[147:148], s[16:17]
	v_add_f64 v[159:160], v[94:95], -v[98:99]
	v_add_f64 v[153:154], v[94:95], v[98:99]
	s_mov_b32 s24, 0xd0032e0c
	s_mov_b32 s40, 0x24c2f84
	s_mov_b32 s25, 0xbfe7f3cc
	s_mov_b32 s41, 0x3fe5384d
	v_add_f64 v[116:117], v[120:121], v[116:117]
	v_add_f64 v[118:119], v[122:123], v[118:119]
	v_fma_f64 v[120:121], v[145:146], s[16:17], -v[124:125]
	v_fma_f64 v[122:123], v[165:166], s[26:27], v[195:196]
	v_add_f64 v[151:152], v[92:93], v[96:97]
	v_add_f64 v[171:172], v[92:93], -v[96:97]
	v_mul_f64 v[126:127], v[159:160], s[40:41]
	v_mul_f64 v[207:208], v[153:154], s[24:25]
	v_add_f64 v[169:170], v[82:83], -v[110:111]
	v_add_f64 v[157:158], v[82:83], v[110:111]
	s_mov_b32 s28, 0xebaa3ed8
	s_mov_b32 s29, 0x3fbedb7d
	s_mov_b32 s31, 0x3fefc445
	s_mov_b32 s30, 0x66966769
	v_add_f64 v[116:117], v[120:121], v[116:117]
	v_add_f64 v[118:119], v[122:123], v[118:119]
	v_fma_f64 v[120:121], v[151:152], s[24:25], -v[126:127]
	v_fma_f64 v[122:123], v[171:172], s[40:41], v[207:208]
	v_add_f64 v[155:156], v[80:81], v[108:109]
	v_add_f64 v[177:178], v[80:81], -v[108:109]
	v_mul_f64 v[181:182], v[169:170], s[30:31]
	v_mul_f64 v[209:210], v[157:158], s[28:29]
	v_add_f64 v[179:180], v[102:103], -v[90:91]
	v_add_f64 v[163:164], v[102:103], v[90:91]
	s_mov_b32 s34, 0xe00740e9
	s_mov_b32 s35, 0x3fec55a7
	s_mov_b32 s37, 0x3fddbe06
	s_mov_b32 s36, 0x4267c47c
	v_add_f64 v[116:117], v[120:121], v[116:117]
	v_add_f64 v[118:119], v[122:123], v[118:119]
	v_fma_f64 v[120:121], v[155:156], s[28:29], -v[181:182]
	v_fma_f64 v[122:123], v[177:178], s[30:31], v[209:210]
	v_add_f64 v[161:162], v[100:101], v[88:89]
	v_add_f64 v[185:186], v[100:101], -v[88:89]
	v_mul_f64 v[187:188], v[179:180], s[36:37]
	v_mul_f64 v[217:218], v[163:164], s[34:35]
	s_waitcnt lgkmcnt(0)
	; wave barrier
	v_add_f64 v[116:117], v[120:121], v[116:117]
	v_add_f64 v[118:119], v[122:123], v[118:119]
	v_fma_f64 v[120:121], v[161:162], s[34:35], -v[187:188]
	v_fma_f64 v[122:123], v[185:186], s[36:37], v[217:218]
	v_add_f64 v[116:117], v[120:121], v[116:117]
	v_add_f64 v[118:119], v[122:123], v[118:119]
	s_and_saveexec_b64 s[20:21], s[0:1]
	s_cbranch_execz .LBB0_17
; %bb.16:
	v_mul_f64 v[120:121], v[133:134], s[8:9]
	v_mul_f64 v[122:123], v[177:178], s[30:31]
	;; [unrolled: 1-line block ×4, first 2 shown]
	s_mov_b32 s39, 0xbfe5384d
	s_mov_b32 s38, s40
	v_mul_f64 v[238:239], v[165:166], s[38:39]
	v_mul_f64 v[248:249], v[149:150], s[38:39]
	buffer_store_dword v120, off, s[52:55], 0 offset:76 ; 4-byte Folded Spill
	s_nop 0
	buffer_store_dword v121, off, s[52:55], 0 offset:80 ; 4-byte Folded Spill
	v_mul_f64 v[120:121], v[175:176], s[10:11]
	v_fma_f64 v[240:241], v[141:142], s[34:35], v[128:129]
	v_fma_f64 v[250:251], v[139:140], s[34:35], -v[234:235]
	s_mov_b32 s43, 0x3fea55e2
	s_mov_b32 s42, s10
	v_mul_f64 v[242:243], v[171:172], s[42:43]
	v_fma_f64 v[252:253], v[147:148], s[24:25], v[238:239]
	v_mul_f64 v[254:255], v[159:160], s[42:43]
	buffer_store_dword v120, off, s[52:55], 0 offset:100 ; 4-byte Folded Spill
	s_nop 0
	buffer_store_dword v121, off, s[52:55], 0 offset:104 ; 4-byte Folded Spill
	v_mul_f64 v[120:121], v[139:140], s[18:19]
	v_fma_f64 v[128:129], v[141:142], s[34:35], -v[128:129]
	v_fma_f64 v[234:235], v[139:140], s[34:35], v[234:235]
	v_mul_f64 v[197:198], v[149:150], s[10:11]
	s_mov_b32 s45, 0x3fcea1e5
	s_mov_b32 s44, s26
	v_mul_f64 v[205:206], v[159:160], s[44:45]
	v_mov_b32_e32 v173, v225
	buffer_store_dword v120, off, s[52:55], 0 offset:52 ; 4-byte Folded Spill
	s_nop 0
	buffer_store_dword v121, off, s[52:55], 0 offset:56 ; 4-byte Folded Spill
	v_mul_f64 v[120:121], v[183:184], s[22:23]
	v_mov_b32_e32 v174, v226
	v_fma_f64 v[211:212], v[145:146], s[8:9], -v[197:198]
	v_mul_f64 v[225:226], v[185:186], s[22:23]
	v_fma_f64 v[197:198], v[145:146], s[8:9], v[197:198]
	v_mul_f64 v[213:214], v[149:150], s[36:37]
	v_add_f64 v[74:75], v[70:71], v[74:75]
	v_add_f64 v[72:73], v[68:69], v[72:73]
	buffer_store_dword v120, off, s[52:55], 0 offset:92 ; 4-byte Folded Spill
	s_nop 0
	buffer_store_dword v121, off, s[52:55], 0 offset:96 ; 4-byte Folded Spill
	v_mul_f64 v[120:121], v[145:146], s[16:17]
	buffer_store_dword v120, off, s[52:55], 0 offset:20 ; 4-byte Folded Spill
	s_nop 0
	buffer_store_dword v121, off, s[52:55], 0 offset:24 ; 4-byte Folded Spill
	v_mul_f64 v[120:121], v[165:166], s[26:27]
	v_fma_f64 v[221:222], v[145:146], s[34:35], -v[213:214]
	v_fma_f64 v[213:214], v[145:146], s[34:35], v[213:214]
	v_add_f64 v[74:75], v[74:75], v[86:87]
	v_add_f64 v[72:73], v[72:73], v[84:85]
	buffer_store_dword v120, off, s[52:55], 0 offset:68 ; 4-byte Folded Spill
	s_nop 0
	buffer_store_dword v121, off, s[52:55], 0 offset:72 ; 4-byte Folded Spill
	v_mul_f64 v[120:121], v[151:152], s[24:25]
	buffer_store_dword v120, off, s[52:55], 0 offset:12 ; 4-byte Folded Spill
	s_nop 0
	buffer_store_dword v121, off, s[52:55], 0 offset:16 ; 4-byte Folded Spill
	v_mul_f64 v[120:121], v[171:172], s[40:41]
	v_add_f64 v[74:75], v[74:75], v[78:79]
	v_add_f64 v[72:73], v[72:73], v[76:77]
	buffer_store_dword v120, off, s[52:55], 0 offset:60 ; 4-byte Folded Spill
	s_nop 0
	buffer_store_dword v121, off, s[52:55], 0 offset:64 ; 4-byte Folded Spill
	v_mul_f64 v[120:121], v[155:156], s[28:29]
	v_add_f64 v[92:93], v[72:73], v[92:93]
	v_add_f64 v[74:75], v[74:75], v[94:95]
	buffer_store_dword v120, off, s[52:55], 0 offset:4 ; 4-byte Folded Spill
	s_nop 0
	buffer_store_dword v121, off, s[52:55], 0 offset:8 ; 4-byte Folded Spill
	buffer_store_dword v122, off, s[52:55], 0 offset:84 ; 4-byte Folded Spill
	s_nop 0
	buffer_store_dword v123, off, s[52:55], 0 offset:88 ; 4-byte Folded Spill
	v_mul_f64 v[122:123], v[161:162], s[34:35]
	v_mul_f64 v[120:121], v[175:176], s[26:27]
	v_add_f64 v[74:75], v[74:75], v[82:83]
	v_add_f64 v[80:81], v[92:93], v[80:81]
	v_mul_f64 v[92:93], v[179:180], s[26:27]
	buffer_store_dword v122, off, s[52:55], 0 offset:28 ; 4-byte Folded Spill
	s_nop 0
	buffer_store_dword v123, off, s[52:55], 0 offset:32 ; 4-byte Folded Spill
	buffer_store_dword v124, off, s[52:55], 0 offset:36 ; 4-byte Folded Spill
	s_nop 0
	buffer_store_dword v125, off, s[52:55], 0 offset:40 ; 4-byte Folded Spill
	;; [unrolled: 3-line block ×3, first 2 shown]
	v_mul_f64 v[126:127], v[137:138], s[26:27]
	v_fma_f64 v[130:131], v[135:136], s[16:17], v[120:121]
	v_fma_f64 v[120:121], v[135:136], s[16:17], -v[120:121]
	buffer_store_dword v227, off, s[52:55], 0 ; 4-byte Folded Spill
	v_fma_f64 v[227:228], v[145:146], s[24:25], -v[248:249]
	v_mul_f64 v[122:123], v[177:178], s[22:23]
	v_mul_f64 v[124:125], v[185:186], s[30:31]
	v_add_f64 v[74:75], v[74:75], v[102:103]
	v_fma_f64 v[236:237], v[133:134], s[16:17], -v[126:127]
	v_add_f64 v[130:131], v[70:71], v[130:131]
	v_fma_f64 v[126:127], v[133:134], s[16:17], v[126:127]
	v_add_f64 v[120:121], v[70:71], v[120:121]
	v_add_f64 v[80:81], v[80:81], v[100:101]
	v_fma_f64 v[244:245], v[157:158], s[18:19], v[122:123]
	v_add_f64 v[74:75], v[74:75], v[90:91]
	v_add_f64 v[236:237], v[68:69], v[236:237]
	v_add_f64 v[130:131], v[240:241], v[130:131]
	v_fma_f64 v[240:241], v[153:154], s[8:9], v[242:243]
	v_add_f64 v[126:127], v[68:69], v[126:127]
	v_add_f64 v[120:121], v[128:129], v[120:121]
	;; [unrolled: 1-line block ×6, first 2 shown]
	v_mul_f64 v[250:251], v[169:170], s[22:23]
	v_fma_f64 v[252:253], v[151:152], s[8:9], -v[254:255]
	v_add_f64 v[126:127], v[234:235], v[126:127]
	v_fma_f64 v[234:235], v[153:154], s[8:9], -v[242:243]
	v_add_f64 v[80:81], v[80:81], v[108:109]
	v_add_f64 v[74:75], v[74:75], v[98:99]
	;; [unrolled: 1-line block ×3, first 2 shown]
	v_fma_f64 v[236:237], v[147:148], s[24:25], -v[238:239]
	v_add_f64 v[128:129], v[240:241], v[130:131]
	v_mul_f64 v[130:131], v[179:180], s[30:31]
	v_fma_f64 v[238:239], v[155:156], s[18:19], -v[250:251]
	v_fma_f64 v[240:241], v[145:146], s[24:25], v[248:249]
	v_mul_f64 v[248:249], v[143:144], s[30:31]
	v_add_f64 v[80:81], v[80:81], v[96:97]
	v_add_f64 v[227:228], v[252:253], v[227:228]
	;; [unrolled: 1-line block ×3, first 2 shown]
	v_fma_f64 v[236:237], v[163:164], s[28:29], v[124:125]
	v_add_f64 v[128:129], v[244:245], v[128:129]
	v_fma_f64 v[242:243], v[161:162], s[28:29], -v[130:131]
	v_fma_f64 v[244:245], v[151:152], s[8:9], v[254:255]
	v_add_f64 v[126:127], v[240:241], v[126:127]
	v_fma_f64 v[199:200], v[139:140], s[28:29], -v[248:249]
	v_add_f64 v[227:228], v[238:239], v[227:228]
	v_fma_f64 v[238:239], v[157:158], s[18:19], -v[122:123]
	v_add_f64 v[234:235], v[234:235], v[120:121]
	v_add_f64 v[122:123], v[236:237], v[128:129]
	v_mul_f64 v[236:237], v[175:176], s[38:39]
	v_fma_f64 v[128:129], v[155:156], s[18:19], v[250:251]
	v_add_f64 v[126:127], v[244:245], v[126:127]
	v_mul_f64 v[254:255], v[171:172], s[44:45]
	v_add_f64 v[120:121], v[242:243], v[227:228]
	v_mul_f64 v[242:243], v[177:178], s[36:37]
	v_add_f64 v[227:228], v[238:239], v[234:235]
	v_fma_f64 v[238:239], v[161:162], s[28:29], v[130:131]
	v_mul_f64 v[130:131], v[137:138], s[38:39]
	v_mul_f64 v[234:235], v[183:184], s[30:31]
	v_fma_f64 v[240:241], v[135:136], s[24:25], v[236:237]
	v_add_f64 v[126:127], v[128:129], v[126:127]
	v_mul_f64 v[128:129], v[165:166], s[10:11]
	v_fma_f64 v[236:237], v[135:136], s[24:25], -v[236:237]
	v_fma_f64 v[203:204], v[153:154], s[16:17], v[254:255]
	v_fma_f64 v[248:249], v[139:140], s[28:29], v[248:249]
	v_fma_f64 v[250:251], v[133:134], s[24:25], -v[130:131]
	v_fma_f64 v[244:245], v[141:142], s[28:29], v[234:235]
	v_add_f64 v[240:241], v[70:71], v[240:241]
	v_fma_f64 v[130:131], v[133:134], s[24:25], v[130:131]
	v_fma_f64 v[167:168], v[147:148], s[8:9], v[128:129]
	v_fma_f64 v[234:235], v[141:142], s[28:29], -v[234:235]
	v_add_f64 v[236:237], v[70:71], v[236:237]
	v_fma_f64 v[128:129], v[147:148], s[8:9], -v[128:129]
	v_add_f64 v[250:251], v[68:69], v[250:251]
	;; [unrolled: 2-line block ×3, first 2 shown]
	v_fma_f64 v[244:245], v[157:158], s[34:35], v[242:243]
	v_add_f64 v[130:131], v[68:69], v[130:131]
	s_mov_b32 s31, 0xbfefc445
	v_mul_f64 v[219:220], v[159:160], s[30:31]
	v_mul_f64 v[252:253], v[185:186], s[36:37]
	v_add_f64 v[199:200], v[199:200], v[250:251]
	v_fma_f64 v[250:251], v[151:152], s[16:17], -v[205:206]
	v_add_f64 v[167:168], v[167:168], v[240:241]
	v_mul_f64 v[240:241], v[169:170], s[36:37]
	v_add_f64 v[130:131], v[248:249], v[130:131]
	v_fma_f64 v[205:206], v[151:152], s[16:17], v[205:206]
	v_mul_f64 v[102:103], v[149:150], s[30:31]
	v_add_f64 v[74:75], v[74:75], v[114:115]
	v_add_f64 v[199:200], v[211:212], v[199:200]
	v_add_f64 v[211:212], v[234:235], v[236:237]
	v_add_f64 v[167:168], v[203:204], v[167:168]
	v_mul_f64 v[203:204], v[179:180], s[22:23]
	v_fma_f64 v[234:235], v[155:156], s[34:35], -v[240:241]
	v_fma_f64 v[236:237], v[163:164], s[18:19], v[225:226]
	v_add_f64 v[197:198], v[197:198], v[130:131]
	v_add_f64 v[130:131], v[124:125], v[227:228]
	;; [unrolled: 1-line block ×5, first 2 shown]
	v_fma_f64 v[244:245], v[153:154], s[16:17], -v[254:255]
	v_fma_f64 v[248:249], v[161:162], s[18:19], -v[203:204]
	;; [unrolled: 1-line block ×3, first 2 shown]
	v_add_f64 v[128:129], v[238:239], v[126:127]
	v_mul_f64 v[242:243], v[143:144], s[40:41]
	v_add_f64 v[199:200], v[234:235], v[199:200]
	v_fma_f64 v[234:235], v[155:156], s[34:35], v[240:241]
	v_add_f64 v[126:127], v[236:237], v[167:168]
	v_add_f64 v[211:212], v[244:245], v[211:212]
	v_fma_f64 v[167:168], v[163:164], s[18:19], -v[225:226]
	v_mul_f64 v[225:226], v[137:138], s[22:23]
	v_mul_f64 v[240:241], v[165:166], s[36:37]
	v_fma_f64 v[215:216], v[139:140], s[24:25], -v[242:243]
	v_add_f64 v[124:125], v[248:249], v[199:200]
	v_mul_f64 v[199:200], v[175:176], s[22:23]
	v_mul_f64 v[250:251], v[171:172], s[30:31]
	v_add_f64 v[211:212], v[227:228], v[211:212]
	v_mul_f64 v[227:228], v[183:184], s[40:41]
	v_fma_f64 v[244:245], v[133:134], s[18:19], -v[225:226]
	v_fma_f64 v[254:255], v[147:148], s[34:35], v[240:241]
	v_fma_f64 v[225:226], v[133:134], s[18:19], v[225:226]
	v_fma_f64 v[240:241], v[147:148], s[34:35], -v[240:241]
	v_fma_f64 v[236:237], v[135:136], s[18:19], v[199:200]
	v_fma_f64 v[199:200], v[135:136], s[18:19], -v[199:200]
	v_add_f64 v[197:198], v[205:206], v[197:198]
	v_fma_f64 v[248:249], v[141:142], s[24:25], v[227:228]
	v_add_f64 v[244:245], v[68:69], v[244:245]
	v_fma_f64 v[227:228], v[141:142], s[24:25], -v[227:228]
	v_add_f64 v[225:226], v[68:69], v[225:226]
	v_mul_f64 v[205:206], v[177:178], s[44:45]
	v_add_f64 v[236:237], v[70:71], v[236:237]
	v_add_f64 v[199:200], v[70:71], v[199:200]
	v_fma_f64 v[203:204], v[161:162], s[18:19], v[203:204]
	v_add_f64 v[197:198], v[234:235], v[197:198]
	v_add_f64 v[215:216], v[215:216], v[244:245]
	v_fma_f64 v[244:245], v[151:152], s[28:29], -v[219:220]
	v_mul_f64 v[234:235], v[185:186], s[42:43]
	v_fma_f64 v[238:239], v[157:158], s[16:17], v[205:206]
	v_add_f64 v[236:237], v[248:249], v[236:237]
	v_add_f64 v[199:200], v[227:228], v[199:200]
	v_fma_f64 v[248:249], v[153:154], s[28:29], v[250:251]
	v_fma_f64 v[205:206], v[157:158], s[16:17], -v[205:206]
	v_add_f64 v[215:216], v[221:222], v[215:216]
	v_fma_f64 v[221:222], v[153:154], s[28:29], -v[250:251]
	v_fma_f64 v[219:220], v[151:152], s[28:29], v[219:220]
	s_mov_b32 s41, 0x3fedeba7
	v_add_f64 v[227:228], v[254:255], v[236:237]
	v_fma_f64 v[236:237], v[139:140], s[24:25], v[242:243]
	v_mul_f64 v[242:243], v[169:170], s[44:45]
	v_add_f64 v[199:200], v[240:241], v[199:200]
	v_add_f64 v[215:216], v[244:245], v[215:216]
	v_fma_f64 v[244:245], v[163:164], s[8:9], -v[234:235]
	s_mov_b32 s40, s22
	v_mul_f64 v[250:251], v[143:144], s[26:27]
	v_add_f64 v[227:228], v[248:249], v[227:228]
	v_add_f64 v[225:226], v[236:237], v[225:226]
	v_fma_f64 v[236:237], v[155:156], s[16:17], -v[242:243]
	v_add_f64 v[199:200], v[221:222], v[199:200]
	v_mul_f64 v[248:249], v[179:180], s[42:43]
	v_fma_f64 v[221:222], v[163:164], s[8:9], v[234:235]
	v_add_f64 v[234:235], v[203:204], v[197:198]
	v_mul_f64 v[197:198], v[175:176], s[30:31]
	v_mul_f64 v[223:224], v[149:150], s[40:41]
	v_add_f64 v[213:214], v[213:214], v[225:226]
	v_add_f64 v[225:226], v[238:239], v[227:228]
	;; [unrolled: 1-line block ×5, first 2 shown]
	v_fma_f64 v[167:168], v[155:156], s[16:17], v[242:243]
	v_fma_f64 v[227:228], v[161:162], s[8:9], -v[248:249]
	v_fma_f64 v[246:247], v[139:140], s[16:17], -v[250:251]
	v_add_f64 v[205:206], v[219:220], v[213:214]
	v_add_f64 v[240:241], v[221:222], v[225:226]
	v_fma_f64 v[213:214], v[135:136], s[28:29], v[197:198]
	v_mul_f64 v[221:222], v[137:138], s[30:31]
	v_fma_f64 v[197:198], v[135:136], s[28:29], -v[197:198]
	v_add_f64 v[244:245], v[244:245], v[199:200]
	v_add_f64 v[238:239], v[227:228], v[215:216]
	v_mul_f64 v[215:216], v[165:166], s[40:41]
	v_add_f64 v[167:168], v[167:168], v[205:206]
	v_mul_f64 v[205:206], v[183:184], s[26:27]
	v_add_f64 v[213:214], v[70:71], v[213:214]
	v_fma_f64 v[254:255], v[133:134], s[28:29], -v[221:222]
	v_fma_f64 v[199:200], v[161:162], s[8:9], v[248:249]
	v_mul_f64 v[227:228], v[171:172], s[36:37]
	v_add_f64 v[197:198], v[70:71], v[197:198]
	v_fma_f64 v[248:249], v[147:148], s[18:19], v[215:216]
	v_fma_f64 v[221:222], v[133:134], s[28:29], v[221:222]
	;; [unrolled: 1-line block ×3, first 2 shown]
	v_fma_f64 v[205:206], v[141:142], s[16:17], -v[205:206]
	v_add_f64 v[254:255], v[68:69], v[254:255]
	v_fma_f64 v[215:216], v[147:148], s[18:19], -v[215:216]
	v_mul_f64 v[211:212], v[177:178], s[10:11]
	v_mul_f64 v[203:204], v[185:186], s[38:39]
	;; [unrolled: 1-line block ×3, first 2 shown]
	v_add_f64 v[221:222], v[68:69], v[221:222]
	v_add_f64 v[213:214], v[225:226], v[213:214]
	v_fma_f64 v[225:226], v[153:154], s[34:35], v[227:228]
	v_add_f64 v[197:198], v[205:206], v[197:198]
	v_add_f64 v[246:247], v[246:247], v[254:255]
	v_fma_f64 v[227:228], v[153:154], s[34:35], -v[227:228]
	v_fma_f64 v[242:243], v[157:158], s[8:9], v[211:212]
	v_fma_f64 v[211:212], v[157:158], s[8:9], -v[211:212]
	v_fma_f64 v[219:220], v[163:164], s[24:25], v[203:204]
	v_add_f64 v[205:206], v[248:249], v[213:214]
	v_mul_f64 v[213:214], v[159:160], s[36:37]
	v_fma_f64 v[248:249], v[139:140], s[16:17], v[250:251]
	v_fma_f64 v[250:251], v[145:146], s[18:19], -v[223:224]
	v_add_f64 v[197:198], v[215:216], v[197:198]
	v_mul_f64 v[215:216], v[169:170], s[10:11]
	v_fma_f64 v[223:224], v[145:146], s[18:19], v[223:224]
	v_fma_f64 v[203:204], v[163:164], s[24:25], -v[203:204]
	v_add_f64 v[205:206], v[225:226], v[205:206]
	v_fma_f64 v[225:226], v[151:152], s[34:35], -v[213:214]
	v_add_f64 v[221:222], v[248:249], v[221:222]
	v_add_f64 v[246:247], v[250:251], v[246:247]
	;; [unrolled: 1-line block ×3, first 2 shown]
	v_fma_f64 v[213:214], v[151:152], s[34:35], v[213:214]
	s_mov_b32 s37, 0xbfddbe06
	v_mul_f64 v[175:176], v[175:176], s[36:37]
	v_add_f64 v[205:206], v[242:243], v[205:206]
	v_add_f64 v[242:243], v[199:200], v[167:168]
	;; [unrolled: 1-line block ×3, first 2 shown]
	v_fma_f64 v[223:224], v[155:156], s[8:9], -v[215:216]
	v_add_f64 v[225:226], v[225:226], v[246:247]
	v_add_f64 v[197:198], v[211:212], v[197:198]
	buffer_load_dword v199, off, s[52:55], 0 offset:100 ; 4-byte Folded Reload
	buffer_load_dword v200, off, s[52:55], 0 offset:104 ; 4-byte Folded Reload
	v_mul_f64 v[82:83], v[137:138], s[36:37]
	v_mul_f64 v[143:144], v[143:144], s[10:11]
	;; [unrolled: 1-line block ×3, first 2 shown]
	v_add_f64 v[211:212], v[213:214], v[221:222]
	v_mul_f64 v[171:172], v[171:172], s[22:23]
	v_add_f64 v[213:214], v[223:224], v[225:226]
	v_mov_b32_e32 v226, v174
	v_mov_b32_e32 v225, v173
	buffer_load_dword v173, off, s[52:55], 0 offset:92 ; 4-byte Folded Reload
	buffer_load_dword v174, off, s[52:55], 0 offset:96 ; 4-byte Folded Reload
	v_add_f64 v[248:249], v[203:204], v[197:198]
	v_add_f64 v[203:204], v[217:218], -v[252:253]
	v_fma_f64 v[100:101], v[133:134], s[34:35], v[82:83]
	v_fma_f64 v[82:83], v[133:134], s[34:35], -v[82:83]
	v_fma_f64 v[133:134], v[141:142], s[8:9], -v[183:184]
	;; [unrolled: 1-line block ×3, first 2 shown]
	v_mul_f64 v[159:160], v[159:160], s[22:23]
	v_mul_f64 v[137:138], v[169:170], s[38:39]
	v_add_f64 v[80:81], v[80:81], v[112:113]
	v_mul_f64 v[227:228], v[179:180], s[38:39]
	v_add_f64 v[88:89], v[68:69], v[100:101]
	v_fma_f64 v[100:101], v[145:146], s[28:29], v[102:103]
	v_fma_f64 v[102:103], v[145:146], s[28:29], -v[102:103]
	v_fma_f64 v[167:168], v[155:156], s[8:9], v[215:216]
	v_fma_f64 v[96:97], v[151:152], s[18:19], -v[159:160]
	v_add_f64 v[74:75], v[74:75], v[106:107]
	v_add_f64 v[80:81], v[80:81], v[104:105]
	v_fma_f64 v[197:198], v[161:162], s[24:25], v[227:228]
	v_add_f64 v[167:168], v[167:168], v[211:212]
	v_add_f64 v[2:3], v[74:75], v[2:3]
	;; [unrolled: 1-line block ×4, first 2 shown]
	s_waitcnt vmcnt(2)
	v_add_f64 v[199:200], v[193:194], -v[199:200]
	v_add_f64 v[193:194], v[219:220], v[205:206]
	v_fma_f64 v[205:206], v[161:162], s[24:25], -v[227:228]
	v_add_f64 v[199:200], v[70:71], v[199:200]
	s_waitcnt vmcnt(0)
	v_add_f64 v[201:202], v[201:202], -v[173:174]
	buffer_load_dword v173, off, s[52:55], 0 offset:76 ; 4-byte Folded Reload
	buffer_load_dword v174, off, s[52:55], 0 offset:80 ; 4-byte Folded Reload
	v_add_f64 v[199:200], v[201:202], v[199:200]
	s_waitcnt vmcnt(0)
	v_add_f64 v[191:192], v[173:174], v[191:192]
	buffer_load_dword v173, off, s[52:55], 0 offset:84 ; 4-byte Folded Reload
	buffer_load_dword v174, off, s[52:55], 0 offset:88 ; 4-byte Folded Reload
	v_add_f64 v[191:192], v[68:69], v[191:192]
	v_add_f64 v[68:69], v[68:69], v[82:83]
	v_fma_f64 v[82:83], v[147:148], s[28:29], -v[165:166]
	v_add_f64 v[68:69], v[90:91], v[68:69]
	v_fma_f64 v[90:91], v[153:154], s[18:19], -v[171:172]
	v_add_f64 v[68:69], v[102:103], v[68:69]
	v_add_f64 v[68:69], v[96:97], v[68:69]
	s_waitcnt vmcnt(0)
	v_add_f64 v[209:210], v[209:210], -v[173:174]
	buffer_load_dword v173, off, s[52:55], 0 offset:68 ; 4-byte Folded Reload
	buffer_load_dword v174, off, s[52:55], 0 offset:72 ; 4-byte Folded Reload
	s_waitcnt vmcnt(0)
	v_add_f64 v[195:196], v[195:196], -v[173:174]
	buffer_load_dword v173, off, s[52:55], 0 offset:52 ; 4-byte Folded Reload
	buffer_load_dword v174, off, s[52:55], 0 offset:56 ; 4-byte Folded Reload
	v_add_f64 v[195:196], v[195:196], v[199:200]
	s_waitcnt vmcnt(0)
	v_add_f64 v[189:190], v[173:174], v[189:190]
	buffer_load_dword v173, off, s[52:55], 0 offset:60 ; 4-byte Folded Reload
	buffer_load_dword v174, off, s[52:55], 0 offset:64 ; 4-byte Folded Reload
	v_add_f64 v[189:190], v[189:190], v[191:192]
	v_fma_f64 v[191:192], v[141:142], s[8:9], v[183:184]
	s_waitcnt vmcnt(0)
	v_add_f64 v[201:202], v[207:208], -v[173:174]
	buffer_load_dword v173, off, s[52:55], 0 offset:20 ; 4-byte Folded Reload
	buffer_load_dword v174, off, s[52:55], 0 offset:24 ; 4-byte Folded Reload
	;; [unrolled: 1-line block ×4, first 2 shown]
	v_fma_f64 v[207:208], v[135:136], s[34:35], v[175:176]
	v_fma_f64 v[135:136], v[135:136], s[34:35], -v[175:176]
	v_add_f64 v[84:85], v[201:202], v[195:196]
	v_add_f64 v[207:208], v[70:71], v[207:208]
	;; [unrolled: 1-line block ×3, first 2 shown]
	v_fma_f64 v[135:136], v[139:140], s[8:9], v[143:144]
	v_add_f64 v[76:77], v[209:210], v[84:85]
	v_add_f64 v[191:192], v[191:192], v[207:208]
	;; [unrolled: 1-line block ×6, first 2 shown]
	v_fma_f64 v[82:83], v[151:152], s[18:19], v[159:160]
	v_add_f64 v[88:89], v[100:101], v[88:89]
	v_add_f64 v[70:71], v[90:91], v[70:71]
	v_fma_f64 v[90:91], v[155:156], s[24:25], v[137:138]
	v_add_f64 v[82:83], v[82:83], v[88:89]
	v_fma_f64 v[88:89], v[155:156], s[24:25], -v[137:138]
	v_add_f64 v[82:83], v[90:91], v[82:83]
	v_add_f64 v[68:69], v[88:89], v[68:69]
	s_waitcnt vmcnt(0)
	v_add_f64 v[199:200], v[173:174], v[199:200]
	buffer_load_dword v86, off, s[52:55], 0 offset:12 ; 4-byte Folded Reload
	buffer_load_dword v87, off, s[52:55], 0 offset:16 ; 4-byte Folded Reload
	;; [unrolled: 1-line block ×8, first 2 shown]
	s_waitcnt vmcnt(4)
	v_add_f64 v[86:87], v[86:87], v[173:174]
	v_add_f64 v[173:174], v[199:200], v[189:190]
	s_waitcnt vmcnt(2)
	v_add_f64 v[78:79], v[78:79], v[181:182]
	s_waitcnt vmcnt(0)
	v_add_f64 v[94:95], v[76:77], v[187:188]
	v_mul_f64 v[76:77], v[185:186], s[26:27]
	v_fma_f64 v[189:190], v[147:148], s[28:29], v[165:166]
	v_add_f64 v[84:85], v[86:87], v[173:174]
	v_mul_f64 v[86:87], v[177:178], s[38:39]
	v_fma_f64 v[173:174], v[153:154], s[18:19], v[171:172]
	v_fma_f64 v[96:97], v[163:164], s[16:17], -v[76:77]
	v_fma_f64 v[90:91], v[163:164], s[16:17], v[76:77]
	v_add_f64 v[177:178], v[189:190], v[191:192]
	v_add_f64 v[191:192], v[205:206], v[213:214]
	;; [unrolled: 1-line block ×3, first 2 shown]
	v_fma_f64 v[84:85], v[157:158], s[24:25], v[86:87]
	v_fma_f64 v[86:87], v[157:158], s[24:25], -v[86:87]
	v_add_f64 v[173:174], v[173:174], v[177:178]
	v_add_f64 v[70:71], v[86:87], v[70:71]
	v_fma_f64 v[86:87], v[161:162], s[16:17], v[92:93]
	v_fma_f64 v[92:93], v[161:162], s[16:17], -v[92:93]
	v_add_f64 v[84:85], v[84:85], v[173:174]
	v_add_f64 v[76:77], v[96:97], v[70:71]
	;; [unrolled: 1-line block ×4, first 2 shown]
	buffer_load_dword v68, off, s[52:55], 0 ; 4-byte Folded Reload
	v_add_f64 v[74:75], v[86:87], v[82:83]
	v_mul_lo_u16_e32 v69, 13, v229
	v_add_f64 v[80:81], v[90:91], v[84:85]
	s_waitcnt vmcnt(0)
	v_lshl_add_u32 v68, v69, 4, v68
	ds_write_b128 v68, v[0:3]
	ds_write_b128 v68, v[74:77] offset:16
	ds_write_b128 v68, v[70:73] offset:32
	;; [unrolled: 1-line block ×12, first 2 shown]
.LBB0_17:
	s_or_b64 exec, exec, s[20:21]
	s_waitcnt lgkmcnt(0)
	; wave barrier
	s_waitcnt lgkmcnt(0)
	ds_read_b128 v[0:3], v230 offset:416
	ds_read_b128 v[68:71], v230 offset:832
	ds_read_b128 v[72:75], v230
	ds_read_b128 v[76:79], v230 offset:1248
	s_mov_b32 s18, 0xf8bb580b
	s_mov_b32 s10, 0x8764f0ba
	s_waitcnt lgkmcnt(2)
	v_mul_f64 v[82:83], v[38:39], v[70:71]
	v_mul_f64 v[80:81], v[42:43], v[2:3]
	;; [unrolled: 1-line block ×4, first 2 shown]
	s_waitcnt lgkmcnt(0)
	v_mul_f64 v[86:87], v[18:19], v[78:79]
	v_mul_f64 v[18:19], v[18:19], v[76:77]
	s_mov_b32 s8, 0x8eee2c13
	s_mov_b32 s16, 0xd9c712b6
	v_fma_f64 v[90:91], v[36:37], v[68:69], v[82:83]
	v_fma_f64 v[88:89], v[40:41], v[0:1], v[80:81]
	v_fma_f64 v[42:43], v[40:41], v[2:3], -v[42:43]
	v_fma_f64 v[36:37], v[36:37], v[70:71], -v[84:85]
	ds_read_b128 v[0:3], v230 offset:1664
	ds_read_b128 v[38:41], v230 offset:2080
	v_fma_f64 v[98:99], v[16:17], v[78:79], -v[18:19]
	v_fma_f64 v[96:97], v[16:17], v[76:77], v[86:87]
	ds_read_b128 v[68:71], v230 offset:2496
	ds_read_b128 v[80:83], v230 offset:2912
	s_waitcnt lgkmcnt(3)
	v_mul_f64 v[94:95], v[10:11], v[2:3]
	v_add_f64 v[84:85], v[72:73], v[88:89]
	v_add_f64 v[92:93], v[74:75], v[42:43]
	v_mul_f64 v[10:11], v[10:11], v[0:1]
	s_waitcnt lgkmcnt(2)
	v_mul_f64 v[102:103], v[26:27], v[40:41]
	v_mul_f64 v[26:27], v[26:27], v[38:39]
	s_mov_b32 s22, 0x43842ef
	s_mov_b32 s26, 0x640f44db
	v_fma_f64 v[94:95], v[8:9], v[0:1], v[94:95]
	v_add_f64 v[100:101], v[84:85], v[90:91]
	v_add_f64 v[92:93], v[92:93], v[36:37]
	v_fma_f64 v[8:9], v[8:9], v[2:3], -v[10:11]
	s_waitcnt lgkmcnt(1)
	v_mul_f64 v[10:11], v[22:23], v[70:71]
	v_mul_f64 v[22:23], v[22:23], v[68:69]
	v_fma_f64 v[38:39], v[24:25], v[38:39], v[102:103]
	v_fma_f64 v[24:25], v[24:25], v[40:41], -v[26:27]
	s_waitcnt lgkmcnt(0)
	v_mul_f64 v[26:27], v[14:15], v[82:83]
	v_add_f64 v[0:1], v[100:101], v[96:97]
	v_add_f64 v[2:3], v[92:93], v[98:99]
	v_mul_f64 v[14:15], v[14:15], v[80:81]
	v_fma_f64 v[10:11], v[20:21], v[68:69], v[10:11]
	v_fma_f64 v[20:21], v[20:21], v[70:71], -v[22:23]
	ds_read_b128 v[16:19], v230 offset:3328
	ds_read_b128 v[76:79], v230 offset:3744
	;; [unrolled: 1-line block ×3, first 2 shown]
	s_mov_b32 s30, 0xbb3a28a1
	v_fma_f64 v[26:27], v[12:13], v[80:81], v[26:27]
	v_add_f64 v[0:1], v[0:1], v[94:95]
	v_add_f64 v[2:3], v[2:3], v[8:9]
	s_waitcnt lgkmcnt(0)
	v_mul_f64 v[40:41], v[34:35], v[84:85]
	v_mul_f64 v[22:23], v[6:7], v[18:19]
	;; [unrolled: 1-line block ×3, first 2 shown]
	v_fma_f64 v[12:13], v[12:13], v[82:83], -v[14:15]
	v_mul_f64 v[34:35], v[34:35], v[86:87]
	s_mov_b32 s34, 0x7f775887
	v_add_f64 v[0:1], v[0:1], v[38:39]
	v_add_f64 v[2:3], v[2:3], v[24:25]
	v_fma_f64 v[14:15], v[32:33], v[86:87], -v[40:41]
	v_mul_f64 v[40:41], v[30:31], v[78:79]
	v_mul_f64 v[30:31], v[30:31], v[76:77]
	v_fma_f64 v[16:17], v[4:5], v[16:17], v[22:23]
	v_fma_f64 v[4:5], v[4:5], v[18:19], -v[6:7]
	v_fma_f64 v[6:7], v[32:33], v[84:85], v[34:35]
	v_add_f64 v[0:1], v[0:1], v[10:11]
	v_add_f64 v[2:3], v[2:3], v[20:21]
	v_add_f64 v[18:19], v[42:43], -v[14:15]
	v_fma_f64 v[22:23], v[28:29], v[76:77], v[40:41]
	v_fma_f64 v[28:29], v[28:29], v[78:79], -v[30:31]
	v_add_f64 v[30:31], v[42:43], v[14:15]
	s_mov_b32 s38, 0xfd768dbf
	s_mov_b32 s40, 0x9bcd5057
	v_add_f64 v[0:1], v[0:1], v[26:27]
	v_add_f64 v[2:3], v[2:3], v[12:13]
	s_mov_b32 s19, 0xbfe14ced
	s_mov_b32 s11, 0x3feaeb8c
	;; [unrolled: 1-line block ×7, first 2 shown]
	v_add_f64 v[2:3], v[2:3], v[4:5]
	s_mov_b32 s35, 0xbfe4f49e
	s_mov_b32 s39, 0xbfd207e7
	;; [unrolled: 1-line block ×3, first 2 shown]
	v_add_f64 v[32:33], v[88:89], v[6:7]
	v_mul_f64 v[34:35], v[18:19], s[18:19]
	v_add_f64 v[0:1], v[0:1], v[16:17]
	v_add_f64 v[40:41], v[88:89], -v[6:7]
	v_mul_f64 v[42:43], v[30:31], s[10:11]
	v_add_f64 v[2:3], v[2:3], v[28:29]
	v_mul_f64 v[70:71], v[18:19], s[8:9]
	v_mul_f64 v[76:77], v[30:31], s[16:17]
	;; [unrolled: 1-line block ×8, first 2 shown]
	v_add_f64 v[104:105], v[36:37], -v[28:29]
	v_add_f64 v[28:29], v[36:37], v[28:29]
	s_mov_b32 s25, 0x3fe14ced
	s_mov_b32 s24, s18
	;; [unrolled: 1-line block ×4, first 2 shown]
	v_add_f64 v[0:1], v[0:1], v[22:23]
	v_fma_f64 v[68:69], v[32:33], s[10:11], v[34:35]
	v_fma_f64 v[78:79], v[40:41], s[24:25], v[42:43]
	v_fma_f64 v[34:35], v[32:33], s[10:11], -v[34:35]
	v_add_f64 v[2:3], v[2:3], v[14:15]
	v_fma_f64 v[14:15], v[40:41], s[18:19], v[42:43]
	v_fma_f64 v[42:43], v[32:33], s[16:17], v[70:71]
	v_fma_f64 v[70:71], v[32:33], s[16:17], -v[70:71]
	v_fma_f64 v[82:83], v[32:33], s[26:27], v[80:81]
	v_fma_f64 v[80:81], v[32:33], s[26:27], -v[80:81]
	;; [unrolled: 2-line block ×3, first 2 shown]
	v_fma_f64 v[36:37], v[32:33], s[40:41], v[18:19]
	v_fma_f64 v[106:107], v[40:41], s[42:43], v[30:31]
	v_add_f64 v[108:109], v[90:91], v[22:23]
	v_add_f64 v[22:23], v[90:91], -v[22:23]
	v_mul_f64 v[90:91], v[104:105], s[8:9]
	v_mul_f64 v[110:111], v[28:29], s[16:17]
	v_fma_f64 v[18:19], v[32:33], s[40:41], -v[18:19]
	s_mov_b32 s21, 0x3fed1bb4
	s_mov_b32 s20, s8
	;; [unrolled: 1-line block ×6, first 2 shown]
	v_add_f64 v[0:1], v[0:1], v[6:7]
	v_add_f64 v[6:7], v[72:73], v[68:69]
	v_fma_f64 v[68:69], v[40:41], s[20:21], v[76:77]
	v_add_f64 v[78:79], v[74:75], v[78:79]
	v_add_f64 v[34:35], v[72:73], v[34:35]
	;; [unrolled: 1-line block ×3, first 2 shown]
	v_fma_f64 v[76:77], v[40:41], s[8:9], v[76:77]
	v_fma_f64 v[92:93], v[40:41], s[28:29], v[84:85]
	;; [unrolled: 1-line block ×4, first 2 shown]
	v_add_f64 v[70:71], v[72:73], v[70:71]
	v_add_f64 v[82:83], v[72:73], v[82:83]
	;; [unrolled: 1-line block ×4, first 2 shown]
	v_fma_f64 v[88:89], v[40:41], s[30:31], v[88:89]
	v_add_f64 v[86:87], v[72:73], v[86:87]
	v_fma_f64 v[30:31], v[40:41], s[38:39], v[30:31]
	v_add_f64 v[32:33], v[72:73], v[36:37]
	v_add_f64 v[36:37], v[74:75], v[106:107]
	v_mul_f64 v[40:41], v[104:105], s[30:31]
	v_mul_f64 v[106:107], v[28:29], s[34:35]
	v_fma_f64 v[112:113], v[108:109], s[16:17], v[90:91]
	v_fma_f64 v[114:115], v[22:23], s[20:21], v[110:111]
	v_add_f64 v[18:19], v[72:73], v[18:19]
	v_fma_f64 v[72:73], v[108:109], s[16:17], -v[90:91]
	v_add_f64 v[14:15], v[74:75], v[14:15]
	v_add_f64 v[68:69], v[74:75], v[68:69]
	;; [unrolled: 1-line block ×8, first 2 shown]
	v_fma_f64 v[74:75], v[22:23], s[8:9], v[110:111]
	v_fma_f64 v[90:91], v[108:109], s[34:35], v[40:41]
	v_fma_f64 v[110:111], v[22:23], s[36:37], v[106:107]
	v_add_f64 v[6:7], v[112:113], v[6:7]
	v_add_f64 v[78:79], v[114:115], v[78:79]
	v_mul_f64 v[112:113], v[104:105], s[42:43]
	v_mul_f64 v[114:115], v[28:29], s[40:41]
	v_add_f64 v[34:35], v[72:73], v[34:35]
	v_fma_f64 v[40:41], v[108:109], s[34:35], -v[40:41]
	v_fma_f64 v[72:73], v[22:23], s[30:31], v[106:107]
	v_mul_f64 v[106:107], v[104:105], s[28:29]
	v_add_f64 v[14:15], v[74:75], v[14:15]
	v_add_f64 v[42:43], v[90:91], v[42:43]
	;; [unrolled: 1-line block ×3, first 2 shown]
	v_fma_f64 v[74:75], v[108:109], s[40:41], v[112:113]
	v_fma_f64 v[90:91], v[22:23], s[38:39], v[114:115]
	v_mul_f64 v[110:111], v[28:29], s[26:27]
	v_add_f64 v[40:41], v[40:41], v[70:71]
	v_add_f64 v[70:71], v[72:73], v[76:77]
	v_fma_f64 v[76:77], v[108:109], s[26:27], v[106:107]
	v_mul_f64 v[104:105], v[104:105], s[24:25]
	v_mul_f64 v[28:29], v[28:29], s[10:11]
	v_add_f64 v[72:73], v[74:75], v[82:83]
	v_add_f64 v[74:75], v[90:91], v[92:93]
	v_fma_f64 v[90:91], v[108:109], s[26:27], -v[106:107]
	v_fma_f64 v[92:93], v[22:23], s[28:29], v[110:111]
	v_fma_f64 v[82:83], v[22:23], s[22:23], v[110:111]
	v_add_f64 v[76:77], v[76:77], v[100:101]
	v_add_f64 v[100:101], v[98:99], -v[4:5]
	v_add_f64 v[4:5], v[98:99], v[4:5]
	v_add_f64 v[98:99], v[96:97], v[16:17]
	v_add_f64 v[16:17], v[96:97], -v[16:17]
	v_add_f64 v[86:87], v[90:91], v[86:87]
	v_add_f64 v[88:89], v[92:93], v[88:89]
	v_fma_f64 v[90:91], v[108:109], s[10:11], v[104:105]
	v_fma_f64 v[92:93], v[22:23], s[18:19], v[28:29]
	v_mul_f64 v[96:97], v[100:101], s[22:23]
	v_fma_f64 v[114:115], v[22:23], s[42:43], v[114:115]
	v_add_f64 v[82:83], v[82:83], v[102:103]
	v_mul_f64 v[102:103], v[4:5], s[26:27]
	v_fma_f64 v[104:105], v[108:109], s[10:11], -v[104:105]
	v_fma_f64 v[22:23], v[22:23], s[24:25], v[28:29]
	v_add_f64 v[28:29], v[90:91], v[32:33]
	v_add_f64 v[32:33], v[92:93], v[36:37]
	v_mul_f64 v[36:37], v[100:101], s[42:43]
	v_mul_f64 v[90:91], v[4:5], s[40:41]
	v_fma_f64 v[92:93], v[98:99], s[26:27], v[96:97]
	v_fma_f64 v[106:107], v[16:17], s[28:29], v[102:103]
	v_add_f64 v[18:19], v[104:105], v[18:19]
	v_add_f64 v[22:23], v[22:23], v[30:31]
	v_fma_f64 v[30:31], v[98:99], s[26:27], -v[96:97]
	v_fma_f64 v[96:97], v[16:17], s[22:23], v[102:103]
	v_fma_f64 v[102:103], v[98:99], s[40:41], v[36:37]
	;; [unrolled: 1-line block ×3, first 2 shown]
	v_add_f64 v[6:7], v[92:93], v[6:7]
	v_mul_f64 v[92:93], v[100:101], s[20:21]
	v_fma_f64 v[112:113], v[108:109], s[40:41], -v[112:113]
	v_add_f64 v[78:79], v[106:107], v[78:79]
	v_mul_f64 v[106:107], v[4:5], s[16:17]
	v_add_f64 v[30:31], v[30:31], v[34:35]
	v_add_f64 v[34:35], v[102:103], v[42:43]
	;; [unrolled: 1-line block ×3, first 2 shown]
	v_fma_f64 v[36:37], v[98:99], s[40:41], -v[36:37]
	v_fma_f64 v[68:69], v[16:17], s[42:43], v[90:91]
	v_fma_f64 v[90:91], v[98:99], s[16:17], v[92:93]
	v_mul_f64 v[102:103], v[100:101], s[18:19]
	v_add_f64 v[80:81], v[112:113], v[80:81]
	v_add_f64 v[14:15], v[96:97], v[14:15]
	v_fma_f64 v[96:97], v[16:17], s[8:9], v[106:107]
	v_mul_f64 v[104:105], v[4:5], s[10:11]
	v_fma_f64 v[92:93], v[98:99], s[16:17], -v[92:93]
	v_add_f64 v[36:37], v[36:37], v[40:41]
	v_add_f64 v[40:41], v[68:69], v[70:71]
	;; [unrolled: 1-line block ×3, first 2 shown]
	v_fma_f64 v[72:73], v[98:99], s[10:11], v[102:103]
	v_mul_f64 v[90:91], v[100:101], s[30:31]
	v_add_f64 v[70:71], v[96:97], v[74:75]
	v_fma_f64 v[74:75], v[16:17], s[24:25], v[104:105]
	v_add_f64 v[80:81], v[92:93], v[80:81]
	v_mul_f64 v[4:5], v[4:5], s[34:35]
	v_fma_f64 v[92:93], v[98:99], s[10:11], -v[102:103]
	v_fma_f64 v[96:97], v[16:17], s[18:19], v[104:105]
	v_add_f64 v[72:73], v[72:73], v[76:77]
	v_add_f64 v[76:77], v[8:9], -v[12:13]
	v_add_f64 v[8:9], v[8:9], v[12:13]
	v_add_f64 v[74:75], v[74:75], v[82:83]
	v_fma_f64 v[12:13], v[98:99], s[34:35], v[90:91]
	v_fma_f64 v[82:83], v[16:17], s[36:37], v[4:5]
	v_add_f64 v[86:87], v[92:93], v[86:87]
	v_add_f64 v[92:93], v[94:95], v[26:27]
	v_add_f64 v[26:27], v[94:95], -v[26:27]
	v_mul_f64 v[94:95], v[76:77], s[30:31]
	v_fma_f64 v[106:107], v[16:17], s[20:21], v[106:107]
	v_add_f64 v[88:89], v[96:97], v[88:89]
	v_mul_f64 v[96:97], v[8:9], s[34:35]
	v_add_f64 v[12:13], v[12:13], v[28:29]
	v_add_f64 v[28:29], v[82:83], v[32:33]
	v_fma_f64 v[32:33], v[98:99], s[34:35], -v[90:91]
	v_fma_f64 v[4:5], v[16:17], s[30:31], v[4:5]
	v_mul_f64 v[16:17], v[76:77], s[28:29]
	v_mul_f64 v[82:83], v[8:9], s[26:27]
	v_fma_f64 v[90:91], v[92:93], s[34:35], v[94:95]
	v_fma_f64 v[94:95], v[92:93], s[34:35], -v[94:95]
	v_add_f64 v[84:85], v[114:115], v[84:85]
	v_fma_f64 v[98:99], v[26:27], s[36:37], v[96:97]
	v_fma_f64 v[96:97], v[26:27], s[30:31], v[96:97]
	v_add_f64 v[18:19], v[32:33], v[18:19]
	v_add_f64 v[4:5], v[4:5], v[22:23]
	v_fma_f64 v[22:23], v[92:93], s[26:27], v[16:17]
	v_fma_f64 v[32:33], v[26:27], s[22:23], v[82:83]
	v_add_f64 v[6:7], v[90:91], v[6:7]
	v_add_f64 v[30:31], v[94:95], v[30:31]
	v_mul_f64 v[90:91], v[76:77], s[18:19]
	v_mul_f64 v[94:95], v[8:9], s[10:11]
	v_fma_f64 v[16:17], v[92:93], s[26:27], -v[16:17]
	v_fma_f64 v[82:83], v[26:27], s[28:29], v[82:83]
	v_add_f64 v[84:85], v[106:107], v[84:85]
	v_add_f64 v[78:79], v[98:99], v[78:79]
	;; [unrolled: 1-line block ×4, first 2 shown]
	v_mul_f64 v[42:43], v[8:9], s[40:41]
	v_fma_f64 v[96:97], v[92:93], s[10:11], v[90:91]
	v_fma_f64 v[98:99], v[26:27], s[24:25], v[94:95]
	v_fma_f64 v[90:91], v[92:93], s[10:11], -v[90:91]
	v_fma_f64 v[94:95], v[26:27], s[18:19], v[94:95]
	v_add_f64 v[16:17], v[16:17], v[36:37]
	v_add_f64 v[36:37], v[82:83], v[40:41]
	v_add_f64 v[82:83], v[24:25], -v[20:21]
	v_mul_f64 v[8:9], v[8:9], s[16:17]
	v_add_f64 v[22:23], v[22:23], v[34:35]
	v_mul_f64 v[34:35], v[76:77], s[38:39]
	v_add_f64 v[24:25], v[24:25], v[20:21]
	v_mul_f64 v[20:21], v[76:77], s[20:21]
	v_add_f64 v[40:41], v[96:97], v[68:69]
	v_add_f64 v[68:69], v[98:99], v[70:71]
	v_add_f64 v[70:71], v[90:91], v[80:81]
	;; [unrolled: 1-line block ×4, first 2 shown]
	v_mul_f64 v[84:85], v[82:83], s[38:39]
	v_fma_f64 v[94:95], v[26:27], s[8:9], v[8:9]
	v_fma_f64 v[100:101], v[92:93], s[40:41], v[34:35]
	;; [unrolled: 1-line block ×3, first 2 shown]
	v_fma_f64 v[34:35], v[92:93], s[40:41], -v[34:35]
	v_fma_f64 v[42:43], v[26:27], s[38:39], v[42:43]
	v_add_f64 v[38:39], v[38:39], -v[10:11]
	v_mul_f64 v[90:91], v[24:25], s[40:41]
	v_fma_f64 v[10:11], v[92:93], s[16:17], v[20:21]
	v_fma_f64 v[20:21], v[92:93], s[16:17], -v[20:21]
	v_fma_f64 v[8:9], v[26:27], s[20:21], v[8:9]
	v_fma_f64 v[26:27], v[76:77], s[40:41], v[84:85]
	v_add_f64 v[92:93], v[94:95], v[28:29]
	v_mul_f64 v[28:29], v[24:25], s[10:11]
	v_add_f64 v[34:35], v[34:35], v[86:87]
	v_add_f64 v[42:43], v[42:43], v[88:89]
	v_fma_f64 v[86:87], v[38:39], s[42:43], v[90:91]
	v_add_f64 v[88:89], v[10:11], v[12:13]
	v_mul_f64 v[12:13], v[82:83], s[24:25]
	v_add_f64 v[94:95], v[20:21], v[18:19]
	v_add_f64 v[96:97], v[8:9], v[4:5]
	v_add_f64 v[8:9], v[26:27], v[6:7]
	v_fma_f64 v[6:7], v[38:39], s[38:39], v[90:91]
	v_fma_f64 v[20:21], v[38:39], s[18:19], v[28:29]
	v_mul_f64 v[26:27], v[82:83], s[30:31]
	v_add_f64 v[10:11], v[86:87], v[78:79]
	v_fma_f64 v[4:5], v[76:77], s[40:41], -v[84:85]
	v_fma_f64 v[18:19], v[76:77], s[10:11], v[12:13]
	v_mul_f64 v[78:79], v[24:25], s[34:35]
	v_fma_f64 v[28:29], v[38:39], s[24:25], v[28:29]
	v_add_f64 v[6:7], v[6:7], v[14:15]
	v_add_f64 v[14:15], v[20:21], v[32:33]
	v_fma_f64 v[20:21], v[76:77], s[34:35], v[26:27]
	v_fma_f64 v[84:85], v[76:77], s[10:11], -v[12:13]
	v_add_f64 v[4:5], v[4:5], v[30:31]
	v_add_f64 v[12:13], v[18:19], v[22:23]
	v_fma_f64 v[22:23], v[38:39], s[36:37], v[78:79]
	v_add_f64 v[18:19], v[28:29], v[36:37]
	v_fma_f64 v[26:27], v[76:77], s[34:35], -v[26:27]
	v_fma_f64 v[28:29], v[38:39], s[30:31], v[78:79]
	v_mul_f64 v[30:31], v[82:83], s[20:21]
	v_mul_f64 v[32:33], v[24:25], s[16:17]
	v_add_f64 v[20:21], v[20:21], v[40:41]
	v_mul_f64 v[36:37], v[82:83], s[22:23]
	v_mul_f64 v[40:41], v[24:25], s[26:27]
	v_add_f64 v[72:73], v[100:101], v[72:73]
	v_add_f64 v[74:75], v[102:103], v[74:75]
	;; [unrolled: 1-line block ×5, first 2 shown]
	v_fma_f64 v[28:29], v[76:77], s[16:17], v[30:31]
	v_fma_f64 v[68:69], v[38:39], s[8:9], v[32:33]
	;; [unrolled: 1-line block ×4, first 2 shown]
	v_add_f64 v[16:17], v[84:85], v[16:17]
	v_fma_f64 v[70:71], v[76:77], s[16:17], -v[30:31]
	v_fma_f64 v[78:79], v[38:39], s[20:21], v[32:33]
	v_fma_f64 v[76:77], v[76:77], s[26:27], -v[36:37]
	v_fma_f64 v[84:85], v[38:39], s[22:23], v[40:41]
	v_add_f64 v[28:29], v[28:29], v[72:73]
	v_add_f64 v[30:31], v[68:69], v[74:75]
	v_add_f64 v[36:37], v[80:81], v[88:89]
	v_add_f64 v[38:39], v[82:83], v[92:93]
	v_add_f64 v[32:33], v[70:71], v[34:35]
	v_add_f64 v[34:35], v[78:79], v[42:43]
	v_add_f64 v[40:41], v[76:77], v[94:95]
	v_add_f64 v[42:43], v[84:85], v[96:97]
	s_waitcnt lgkmcnt(0)
	; wave barrier
	ds_write_b128 v232, v[0:3]
	ds_write_b128 v232, v[8:11] offset:208
	ds_write_b128 v232, v[12:15] offset:416
	;; [unrolled: 1-line block ×10, first 2 shown]
	s_waitcnt lgkmcnt(0)
	; wave barrier
	s_waitcnt lgkmcnt(0)
	ds_read_b128 v[20:23], v230
	ds_read_b128 v[8:11], v230 offset:416
	ds_read_b128 v[36:39], v230 offset:2704
	;; [unrolled: 1-line block ×9, first 2 shown]
	v_add_u32_e32 v68, 0x680, v233
	s_and_saveexec_b64 s[8:9], s[2:3]
	s_cbranch_execz .LBB0_19
; %bb.18:
	ds_read_b128 v[4:7], v230 offset:2080
	ds_read_b128 v[116:119], v230 offset:4368
.LBB0_19:
	s_or_b64 exec, exec, s[8:9]
	s_waitcnt lgkmcnt(3)
	v_mul_f64 v[69:70], v[50:51], v[42:43]
	v_mul_f64 v[50:51], v[50:51], v[40:41]
	;; [unrolled: 1-line block ×6, first 2 shown]
	s_waitcnt lgkmcnt(1)
	v_mul_f64 v[75:76], v[62:63], v[34:35]
	v_fma_f64 v[40:41], v[48:49], v[40:41], v[69:70]
	v_fma_f64 v[42:43], v[48:49], v[42:43], -v[50:51]
	v_mul_f64 v[48:49], v[62:63], v[32:33]
	s_waitcnt lgkmcnt(0)
	v_mul_f64 v[50:51], v[66:67], v[30:31]
	v_mul_f64 v[62:63], v[66:67], v[28:29]
	v_fma_f64 v[66:67], v[52:53], v[36:37], v[71:72]
	v_fma_f64 v[52:53], v[52:53], v[38:39], -v[54:55]
	v_fma_f64 v[54:55], v[56:57], v[24:25], v[73:74]
	v_add_f64 v[36:37], v[20:21], -v[40:41]
	v_fma_f64 v[40:41], v[56:57], v[26:27], -v[58:59]
	v_fma_f64 v[32:33], v[60:61], v[32:33], v[75:76]
	v_fma_f64 v[34:35], v[60:61], v[34:35], -v[48:49]
	v_add_f64 v[38:39], v[22:23], -v[42:43]
	v_fma_f64 v[42:43], v[64:65], v[28:29], v[50:51]
	v_fma_f64 v[48:49], v[64:65], v[30:31], -v[62:63]
	v_add_f64 v[24:25], v[8:9], -v[66:67]
	v_add_f64 v[26:27], v[10:11], -v[52:53]
	;; [unrolled: 1-line block ×6, first 2 shown]
	v_fma_f64 v[20:21], v[20:21], 2.0, -v[36:37]
	v_fma_f64 v[22:23], v[22:23], 2.0, -v[38:39]
	v_add_f64 v[40:41], v[0:1], -v[42:43]
	v_add_f64 v[42:43], v[2:3], -v[48:49]
	v_fma_f64 v[8:9], v[8:9], 2.0, -v[24:25]
	v_fma_f64 v[10:11], v[10:11], 2.0, -v[26:27]
	;; [unrolled: 1-line block ×8, first 2 shown]
	ds_write_b128 v231, v[20:23]
	ds_write_b128 v231, v[36:39] offset:2288
	ds_write_b128 v231, v[8:11] offset:416
	;; [unrolled: 1-line block ×9, first 2 shown]
	s_and_saveexec_b64 s[8:9], s[2:3]
	s_cbranch_execz .LBB0_21
; %bb.20:
	v_mul_f64 v[0:1], v[46:47], v[116:117]
	v_mul_f64 v[2:3], v[46:47], v[118:119]
	v_fma_f64 v[0:1], v[44:45], v[118:119], -v[0:1]
	v_fma_f64 v[8:9], v[44:45], v[116:117], v[2:3]
	v_add_f64 v[2:3], v[6:7], -v[0:1]
	v_add_f64 v[0:1], v[4:5], -v[8:9]
	v_fma_f64 v[6:7], v[6:7], 2.0, -v[2:3]
	v_fma_f64 v[4:5], v[4:5], 2.0, -v[0:1]
	ds_write_b128 v231, v[4:7] offset:2080
	ds_write_b128 v231, v[0:3] offset:4368
.LBB0_21:
	s_or_b64 exec, exec, s[8:9]
	s_waitcnt lgkmcnt(0)
	; wave barrier
	s_waitcnt lgkmcnt(0)
	s_and_b64 exec, exec, s[0:1]
	s_cbranch_execz .LBB0_23
; %bb.22:
	global_load_dwordx4 v[0:3], v132, s[14:15]
	global_load_dwordx4 v[4:7], v132, s[14:15] offset:352
	global_load_dwordx4 v[8:11], v132, s[14:15] offset:704
	;; [unrolled: 1-line block ×11, first 2 shown]
	v_mad_u64_u32 v[72:73], s[0:1], s6, v225, 0
	v_mad_u64_u32 v[74:75], s[2:3], s4, v229, 0
	s_mul_i32 s3, s5, 0x160
	s_mul_hi_u32 s6, s4, 0x160
	s_add_i32 s3, s6, s3
	v_mad_u64_u32 v[76:77], s[6:7], s7, v225, v[73:74]
	s_mul_i32 s2, s4, 0x160
	v_mov_b32_e32 v48, s15
	v_mad_u64_u32 v[77:78], s[4:5], s5, v229, v[75:76]
	v_mov_b32_e32 v73, v76
	v_add_co_u32_e32 v91, vcc, s14, v132
	v_lshlrev_b64 v[72:73], 4, v[72:73]
	v_addc_co_u32_e32 v92, vcc, 0, v48, vcc
	v_mov_b32_e32 v75, v77
	v_mov_b32_e32 v79, s13
	v_lshlrev_b64 v[74:75], 4, v[74:75]
	v_add_co_u32_e32 v72, vcc, s12, v72
	v_addc_co_u32_e32 v73, vcc, v79, v73, vcc
	v_add_co_u32_e32 v72, vcc, v72, v74
	v_addc_co_u32_e32 v73, vcc, v73, v75, vcc
	v_mov_b32_e32 v80, s3
	v_add_co_u32_e32 v74, vcc, s2, v72
	v_lshl_add_u32 v90, v226, 4, v132
	ds_read_b128 v[48:51], v231
	ds_read_b128 v[52:55], v90 offset:352
	v_addc_co_u32_e32 v75, vcc, v73, v80, vcc
	v_mov_b32_e32 v78, s3
	v_add_co_u32_e32 v76, vcc, s2, v74
	v_addc_co_u32_e32 v77, vcc, v75, v78, vcc
	v_mov_b32_e32 v81, s3
	v_add_co_u32_e32 v78, vcc, s2, v76
	ds_read_b128 v[56:59], v90 offset:704
	ds_read_b128 v[60:63], v90 offset:1056
	;; [unrolled: 1-line block ×4, first 2 shown]
	v_addc_co_u32_e32 v79, vcc, v77, v81, vcc
	s_mov_b32 s0, 0x55ee191
	s_mov_b32 s1, 0x3f6ca4b3
	s_movk_i32 s4, 0x1000
	s_waitcnt vmcnt(11) lgkmcnt(5)
	v_mul_f64 v[80:81], v[50:51], v[2:3]
	v_mul_f64 v[2:3], v[48:49], v[2:3]
	s_waitcnt vmcnt(10) lgkmcnt(4)
	v_mul_f64 v[82:83], v[54:55], v[6:7]
	v_mul_f64 v[6:7], v[52:53], v[6:7]
	;; [unrolled: 3-line block ×4, first 2 shown]
	v_fma_f64 v[48:49], v[48:49], v[0:1], v[80:81]
	v_fma_f64 v[2:3], v[0:1], v[50:51], -v[2:3]
	v_fma_f64 v[50:51], v[52:53], v[4:5], v[82:83]
	v_fma_f64 v[6:7], v[4:5], v[54:55], -v[6:7]
	;; [unrolled: 2-line block ×4, first 2 shown]
	s_waitcnt vmcnt(7) lgkmcnt(1)
	v_mul_f64 v[88:89], v[66:67], v[18:19]
	v_mul_f64 v[18:19], v[64:65], v[18:19]
	;; [unrolled: 1-line block ×8, first 2 shown]
	s_waitcnt vmcnt(6) lgkmcnt(0)
	v_mul_f64 v[48:49], v[70:71], v[22:23]
	v_mul_f64 v[22:23], v[68:69], v[22:23]
	;; [unrolled: 1-line block ×4, first 2 shown]
	v_fma_f64 v[56:57], v[64:65], v[16:17], v[88:89]
	v_fma_f64 v[18:19], v[16:17], v[66:67], -v[18:19]
	global_store_dwordx4 v[72:73], v[0:3], off
	global_store_dwordx4 v[74:75], v[4:7], off
	;; [unrolled: 1-line block ×4, first 2 shown]
	ds_read_b128 v[0:3], v90 offset:2112
	ds_read_b128 v[4:7], v90 offset:2464
	v_fma_f64 v[8:9], v[68:69], v[20:21], v[48:49]
	v_fma_f64 v[10:11], v[20:21], v[70:71], -v[22:23]
	v_mul_f64 v[16:17], v[56:57], s[0:1]
	s_waitcnt vmcnt(9) lgkmcnt(1)
	v_mul_f64 v[12:13], v[2:3], v[26:27]
	v_mul_f64 v[14:15], v[0:1], v[26:27]
	;; [unrolled: 1-line block ×3, first 2 shown]
	v_mov_b32_e32 v50, s3
	v_add_co_u32_e32 v20, vcc, s2, v78
	v_mul_f64 v[8:9], v[8:9], s[0:1]
	v_mul_f64 v[10:11], v[10:11], s[0:1]
	v_fma_f64 v[0:1], v[0:1], v[24:25], v[12:13]
	v_fma_f64 v[2:3], v[24:25], v[2:3], -v[14:15]
	s_waitcnt vmcnt(8) lgkmcnt(0)
	v_mul_f64 v[12:13], v[6:7], v[30:31]
	v_mul_f64 v[14:15], v[4:5], v[30:31]
	v_addc_co_u32_e32 v21, vcc, v79, v50, vcc
	global_store_dwordx4 v[20:21], v[16:19], off
	v_mov_b32_e32 v22, s3
	v_mov_b32_e32 v17, s3
	v_add_co_u32_e32 v16, vcc, s2, v20
	v_addc_co_u32_e32 v17, vcc, v21, v17, vcc
	global_store_dwordx4 v[16:17], v[8:11], off
	ds_read_b128 v[8:11], v90 offset:2816
	v_mul_f64 v[0:1], v[0:1], s[0:1]
	v_mul_f64 v[2:3], v[2:3], s[0:1]
	v_fma_f64 v[12:13], v[4:5], v[28:29], v[12:13]
	v_fma_f64 v[14:15], v[28:29], v[6:7], -v[14:15]
	ds_read_b128 v[4:7], v90 offset:3168
	s_waitcnt vmcnt(9) lgkmcnt(1)
	v_mul_f64 v[18:19], v[10:11], v[34:35]
	v_mul_f64 v[20:21], v[8:9], v[34:35]
	v_add_co_u32_e32 v16, vcc, s2, v16
	v_addc_co_u32_e32 v17, vcc, v17, v22, vcc
	global_store_dwordx4 v[16:17], v[0:3], off
	v_add_co_u32_e32 v16, vcc, s2, v16
	v_mul_f64 v[0:1], v[12:13], s[0:1]
	v_mul_f64 v[2:3], v[14:15], s[0:1]
	v_fma_f64 v[8:9], v[8:9], v[32:33], v[18:19]
	v_fma_f64 v[10:11], v[32:33], v[10:11], -v[20:21]
	s_waitcnt vmcnt(9) lgkmcnt(0)
	v_mul_f64 v[12:13], v[6:7], v[38:39]
	v_mul_f64 v[14:15], v[4:5], v[38:39]
	v_addc_co_u32_e32 v17, vcc, v17, v22, vcc
	v_mov_b32_e32 v18, s3
	global_store_dwordx4 v[16:17], v[0:3], off
	v_add_co_u32_e32 v16, vcc, s2, v16
	v_mul_f64 v[0:1], v[8:9], s[0:1]
	v_mul_f64 v[2:3], v[10:11], s[0:1]
	v_fma_f64 v[12:13], v[4:5], v[36:37], v[12:13]
	v_fma_f64 v[14:15], v[36:37], v[6:7], -v[14:15]
	ds_read_b128 v[4:7], v90 offset:3520
	ds_read_b128 v[8:11], v90 offset:3872
	v_addc_co_u32_e32 v17, vcc, v17, v18, vcc
	s_waitcnt vmcnt(9) lgkmcnt(1)
	v_mul_f64 v[18:19], v[6:7], v[42:43]
	v_mul_f64 v[20:21], v[4:5], v[42:43]
	s_waitcnt vmcnt(8) lgkmcnt(0)
	v_mul_f64 v[22:23], v[10:11], v[46:47]
	v_mul_f64 v[24:25], v[8:9], v[46:47]
	global_store_dwordx4 v[16:17], v[0:3], off
	v_fma_f64 v[4:5], v[4:5], v[40:41], v[18:19]
	v_mul_f64 v[0:1], v[12:13], s[0:1]
	v_mul_f64 v[2:3], v[14:15], s[0:1]
	v_fma_f64 v[6:7], v[40:41], v[6:7], -v[20:21]
	v_fma_f64 v[8:9], v[8:9], v[44:45], v[22:23]
	v_fma_f64 v[10:11], v[44:45], v[10:11], -v[24:25]
	v_mov_b32_e32 v13, s3
	v_add_co_u32_e32 v12, vcc, s2, v16
	v_addc_co_u32_e32 v13, vcc, v17, v13, vcc
	global_store_dwordx4 v[12:13], v[0:3], off
	v_mov_b32_e32 v14, s3
	v_mul_f64 v[0:1], v[4:5], s[0:1]
	v_mul_f64 v[2:3], v[6:7], s[0:1]
	;; [unrolled: 1-line block ×4, first 2 shown]
	v_add_co_u32_e32 v8, vcc, s2, v12
	v_addc_co_u32_e32 v9, vcc, v13, v14, vcc
	global_store_dwordx4 v[8:9], v[0:3], off
	s_nop 0
	v_mov_b32_e32 v0, s3
	v_add_co_u32_e32 v8, vcc, s2, v8
	v_addc_co_u32_e32 v9, vcc, v9, v0, vcc
	v_add_co_u32_e32 v0, vcc, s4, v91
	global_store_dwordx4 v[8:9], v[4:7], off
	v_addc_co_u32_e32 v1, vcc, 0, v92, vcc
	global_load_dwordx4 v[0:3], v[0:1], off offset:128
	ds_read_b128 v[4:7], v90 offset:4224
	s_waitcnt vmcnt(0) lgkmcnt(0)
	v_mul_f64 v[10:11], v[6:7], v[2:3]
	v_mul_f64 v[2:3], v[4:5], v[2:3]
	v_fma_f64 v[4:5], v[4:5], v[0:1], v[10:11]
	v_fma_f64 v[2:3], v[0:1], v[6:7], -v[2:3]
	v_mul_f64 v[0:1], v[4:5], s[0:1]
	v_mul_f64 v[2:3], v[2:3], s[0:1]
	v_mov_b32_e32 v5, s3
	v_add_co_u32_e32 v4, vcc, s2, v8
	v_addc_co_u32_e32 v5, vcc, v9, v5, vcc
	global_store_dwordx4 v[4:5], v[0:3], off
.LBB0_23:
	s_endpgm
	.section	.rodata,"a",@progbits
	.p2align	6, 0x0
	.amdhsa_kernel bluestein_single_fwd_len286_dim1_dp_op_CI_CI
		.amdhsa_group_segment_fixed_size 9152
		.amdhsa_private_segment_fixed_size 112
		.amdhsa_kernarg_size 104
		.amdhsa_user_sgpr_count 6
		.amdhsa_user_sgpr_private_segment_buffer 1
		.amdhsa_user_sgpr_dispatch_ptr 0
		.amdhsa_user_sgpr_queue_ptr 0
		.amdhsa_user_sgpr_kernarg_segment_ptr 1
		.amdhsa_user_sgpr_dispatch_id 0
		.amdhsa_user_sgpr_flat_scratch_init 0
		.amdhsa_user_sgpr_private_segment_size 0
		.amdhsa_uses_dynamic_stack 0
		.amdhsa_system_sgpr_private_segment_wavefront_offset 1
		.amdhsa_system_sgpr_workgroup_id_x 1
		.amdhsa_system_sgpr_workgroup_id_y 0
		.amdhsa_system_sgpr_workgroup_id_z 0
		.amdhsa_system_sgpr_workgroup_info 0
		.amdhsa_system_vgpr_workitem_id 0
		.amdhsa_next_free_vgpr 256
		.amdhsa_next_free_sgpr 56
		.amdhsa_reserve_vcc 1
		.amdhsa_reserve_flat_scratch 0
		.amdhsa_float_round_mode_32 0
		.amdhsa_float_round_mode_16_64 0
		.amdhsa_float_denorm_mode_32 3
		.amdhsa_float_denorm_mode_16_64 3
		.amdhsa_dx10_clamp 1
		.amdhsa_ieee_mode 1
		.amdhsa_fp16_overflow 0
		.amdhsa_exception_fp_ieee_invalid_op 0
		.amdhsa_exception_fp_denorm_src 0
		.amdhsa_exception_fp_ieee_div_zero 0
		.amdhsa_exception_fp_ieee_overflow 0
		.amdhsa_exception_fp_ieee_underflow 0
		.amdhsa_exception_fp_ieee_inexact 0
		.amdhsa_exception_int_div_zero 0
	.end_amdhsa_kernel
	.text
.Lfunc_end0:
	.size	bluestein_single_fwd_len286_dim1_dp_op_CI_CI, .Lfunc_end0-bluestein_single_fwd_len286_dim1_dp_op_CI_CI
                                        ; -- End function
	.section	.AMDGPU.csdata,"",@progbits
; Kernel info:
; codeLenInByte = 19476
; NumSgprs: 60
; NumVgprs: 256
; ScratchSize: 112
; MemoryBound: 0
; FloatMode: 240
; IeeeMode: 1
; LDSByteSize: 9152 bytes/workgroup (compile time only)
; SGPRBlocks: 7
; VGPRBlocks: 63
; NumSGPRsForWavesPerEU: 60
; NumVGPRsForWavesPerEU: 256
; Occupancy: 1
; WaveLimiterHint : 1
; COMPUTE_PGM_RSRC2:SCRATCH_EN: 1
; COMPUTE_PGM_RSRC2:USER_SGPR: 6
; COMPUTE_PGM_RSRC2:TRAP_HANDLER: 0
; COMPUTE_PGM_RSRC2:TGID_X_EN: 1
; COMPUTE_PGM_RSRC2:TGID_Y_EN: 0
; COMPUTE_PGM_RSRC2:TGID_Z_EN: 0
; COMPUTE_PGM_RSRC2:TIDIG_COMP_CNT: 0
	.type	__hip_cuid_3db249c4afc450ec,@object ; @__hip_cuid_3db249c4afc450ec
	.section	.bss,"aw",@nobits
	.globl	__hip_cuid_3db249c4afc450ec
__hip_cuid_3db249c4afc450ec:
	.byte	0                               ; 0x0
	.size	__hip_cuid_3db249c4afc450ec, 1

	.ident	"AMD clang version 19.0.0git (https://github.com/RadeonOpenCompute/llvm-project roc-6.4.0 25133 c7fe45cf4b819c5991fe208aaa96edf142730f1d)"
	.section	".note.GNU-stack","",@progbits
	.addrsig
	.addrsig_sym __hip_cuid_3db249c4afc450ec
	.amdgpu_metadata
---
amdhsa.kernels:
  - .args:
      - .actual_access:  read_only
        .address_space:  global
        .offset:         0
        .size:           8
        .value_kind:     global_buffer
      - .actual_access:  read_only
        .address_space:  global
        .offset:         8
        .size:           8
        .value_kind:     global_buffer
      - .actual_access:  read_only
        .address_space:  global
        .offset:         16
        .size:           8
        .value_kind:     global_buffer
      - .actual_access:  read_only
        .address_space:  global
        .offset:         24
        .size:           8
        .value_kind:     global_buffer
      - .actual_access:  read_only
        .address_space:  global
        .offset:         32
        .size:           8
        .value_kind:     global_buffer
      - .offset:         40
        .size:           8
        .value_kind:     by_value
      - .address_space:  global
        .offset:         48
        .size:           8
        .value_kind:     global_buffer
      - .address_space:  global
        .offset:         56
        .size:           8
        .value_kind:     global_buffer
      - .address_space:  global
        .offset:         64
        .size:           8
        .value_kind:     global_buffer
      - .address_space:  global
        .offset:         72
        .size:           8
        .value_kind:     global_buffer
      - .offset:         80
        .size:           4
        .value_kind:     by_value
      - .address_space:  global
        .offset:         88
        .size:           8
        .value_kind:     global_buffer
      - .address_space:  global
        .offset:         96
        .size:           8
        .value_kind:     global_buffer
    .group_segment_fixed_size: 9152
    .kernarg_segment_align: 8
    .kernarg_segment_size: 104
    .language:       OpenCL C
    .language_version:
      - 2
      - 0
    .max_flat_workgroup_size: 52
    .name:           bluestein_single_fwd_len286_dim1_dp_op_CI_CI
    .private_segment_fixed_size: 112
    .sgpr_count:     60
    .sgpr_spill_count: 0
    .symbol:         bluestein_single_fwd_len286_dim1_dp_op_CI_CI.kd
    .uniform_work_group_size: 1
    .uses_dynamic_stack: false
    .vgpr_count:     256
    .vgpr_spill_count: 27
    .wavefront_size: 64
amdhsa.target:   amdgcn-amd-amdhsa--gfx906
amdhsa.version:
  - 1
  - 2
...

	.end_amdgpu_metadata
